;; amdgpu-corpus repo=ROCm/aiter kind=harvested arch=n/a opt=n/a

/root/src/amdgpu-assembly/repos/ROCm__aiter/hsa/gfx950/fmoe/silu/fmoe_fp16_pertokenInt8_g1u0_vs_silu_1tg_32x448.co:	file format elf64-amdgpu

Disassembly of section .text:

0000000000002e00 <_ZN5aiter46fmoe_fp16_pertokenInt8_g1u0_vs_silu_1tg_32x448E>:
	s_and_b32 s1, s1, 0xffff                                   // 000000002E00: 8601FF01 0000FFFF
	s_load_dwordx2 s[8:9], s[0:1], 0x0                         // 000000002E08: C0060200 00000000
	s_load_dwordx2 s[20:21], s[0:1], 0x10                      // 000000002E10: C0060500 00000010
	s_load_dwordx2 s[24:25], s[0:1], 0x20                      // 000000002E18: C0060600 00000020
	s_load_dwordx2 s[50:51], s[0:1], 0x30                      // 000000002E20: C0060C80 00000030
	s_load_dwordx2 s[12:13], s[0:1], 0x40                      // 000000002E28: C0060300 00000040
	s_load_dwordx2 s[28:29], s[0:1], 0x50                      // 000000002E30: C0060700 00000050
	s_load_dwordx2 s[32:33], s[0:1], 0x60                      // 000000002E38: C0060800 00000060
	s_load_dwordx2 s[16:17], s[0:1], 0x70                      // 000000002E40: C0060400 00000070
	s_load_dwordx2 s[36:37], s[0:1], 0x80                      // 000000002E48: C0060900 00000080
	s_load_dwordx2 s[44:45], s[0:1], 0x90                      // 000000002E50: C0060B00 00000090
	s_load_dwordx2 s[40:41], s[0:1], 0xa0                      // 000000002E58: C0060A00 000000A0
	s_load_dwordx2 s[46:47], s[0:1], 0xb0                      // 000000002E60: C0060B80 000000B0
	s_load_dword s64, s[0:1], 0xc0                             // 000000002E68: C0021000 000000C0
	s_load_dword s65, s[0:1], 0xd0                             // 000000002E70: C0021040 000000D0
	s_load_dword s66, s[0:1], 0xe0                             // 000000002E78: C0021080 000000E0
	s_load_dword s67, s[0:1], 0xf0                             // 000000002E80: C00210C0 000000F0
	s_load_dword s68, s[0:1], 0x100                            // 000000002E88: C0021100 00000100
	s_load_dword s69, s[0:1], 0x110                            // 000000002E90: C0021140 00000110
	s_load_dword s70, s[0:1], 0x120                            // 000000002E98: C0021180 00000120
	s_load_dword s71, s[0:1], 0x130                            // 000000002EA0: C00211C0 00000130
	s_load_dword s72, s[0:1], 0x140                            // 000000002EA8: C0021200 00000140
	s_load_dword s73, s[0:1], 0x150                            // 000000002EB0: C0021240 00000150
	s_load_dword s74, s[0:1], 0x160                            // 000000002EB8: C0021280 00000160
	s_load_dword s75, s[0:1], 0x170                            // 000000002EC0: C00212C0 00000170
	s_load_dword s76, s[0:1], 0x180                            // 000000002EC8: C0021300 00000180
	s_load_dword s63, s[0:1], 0x190                            // 000000002ED0: C0020FC0 00000190
	v_lshrrev_b32_e32 v1, 10, v0                               // 000000002ED8: 2002008A
	v_lshrrev_b32_e32 v2, 10, v1                               // 000000002EDC: 2004028A
	v_and_b32_e32 v2, 0x3ff, v2                                // 000000002EE0: 260404FF 000003FF
	v_and_b32_e32 v1, 0x3ff, v1                                // 000000002EE8: 260202FF 000003FF
	v_and_b32_e32 v0, 0x3ff, v0                                // 000000002EF0: 260000FF 000003FF
	v_lshrrev_b32_e32 v3, 6, v0                                // 000000002EF8: 20060086
	v_and_b32_e32 v0, 63, v0                                   // 000000002EFC: 260000BF
	s_mov_b32 s2, s2                                           // 000000002F00: BE820002
	s_mov_b32 s3, s3                                           // 000000002F04: BE830003
	s_mov_b32 s4, s4                                           // 000000002F08: BE840004
	v_readfirstlane_b32 s7, v3                                 // 000000002F0C: 7E0E0503
	s_waitcnt lgkmcnt(0)                                       // 000000002F10: BF8CC07F
	s_and_b32 s51, s51, 0xffff                                 // 000000002F14: 8633FF33 0000FFFF
	s_load_dword s50, s[50:51], 0x0                            // 000000002F1C: C0020C99 00000000
	s_and_b32 s45, s45, 0xffff                                 // 000000002F24: 862DFF2D 0000FFFF
	s_and_b32 s47, s47, 0xffff                                 // 000000002F2C: 862FFF2F 0000FFFF
	s_and_b32 s9, s9, 0xffff                                   // 000000002F34: 8609FF09 0000FFFF
	s_mul_i32 s60, s66, s68                                    // 000000002F3C: 923C4442
	s_mul_i32 s60, s63, s60                                    // 000000002F40: 923C3C3F
	s_mul_i32 s61, s66, 4                                      // 000000002F44: 923D8442
	s_mul_i32 s61, s63, s61                                    // 000000002F48: 923D3D3F
	s_mov_b32 s22, s60                                         // 000000002F4C: BE96003C
	s_mov_b32 s26, -16                                         // 000000002F50: BE9A00D0
	s_mov_b32 s14, -16                                         // 000000002F54: BE8E00D0
	s_mov_b32 s42, -16                                         // 000000002F58: BEAA00D0
	s_mov_b32 s30, s61                                         // 000000002F5C: BE9E003D
	s_mov_b32 s34, 0x700                                       // 000000002F60: BEA200FF 00000700
	s_mov_b32 s38, 0x700                                       // 000000002F68: BEA600FF 00000700
	s_mov_b32 s18, -16                                         // 000000002F70: BE9200D0
	s_mov_b32 s23, 0x20000                                     // 000000002F74: BE9700FF 00020000
	s_mov_b32 s27, 0x20000                                     // 000000002F7C: BE9B00FF 00020000
	s_mov_b32 s15, 0x20000                                     // 000000002F84: BE8F00FF 00020000
	s_mov_b32 s43, 0x20000                                     // 000000002F8C: BEAB00FF 00020000
	s_mov_b32 s31, 0x20000                                     // 000000002F94: BE9F00FF 00020000
	s_mov_b32 s35, 0x20000                                     // 000000002F9C: BEA300FF 00020000
	s_mov_b32 s39, 0x20000                                     // 000000002FA4: BEA700FF 00020000
	s_mov_b32 s19, 0x20000                                     // 000000002FAC: BE9300FF 00020000
	s_and_b32 s21, s21, 0xffff                                 // 000000002FB4: 8615FF15 0000FFFF
	s_and_b32 s25, s25, 0xffff                                 // 000000002FBC: 8619FF19 0000FFFF
	s_and_b32 s13, s13, 0xffff                                 // 000000002FC4: 860DFF0D 0000FFFF
	s_and_b32 s41, s41, 0xffff                                 // 000000002FCC: 8629FF29 0000FFFF
	s_and_b32 s29, s29, 0xffff                                 // 000000002FD4: 861DFF1D 0000FFFF
	s_and_b32 s33, s33, 0xffff                                 // 000000002FDC: 8621FF21 0000FFFF
	s_and_b32 s37, s37, 0xffff                                 // 000000002FE4: 8625FF25 0000FFFF
	s_and_b32 s17, s17, 0xffff                                 // 000000002FEC: 8611FF11 0000FFFF
	s_or_b32 s21, s21, 0x40000                                 // 000000002FF4: 8715FF15 00040000
	s_or_b32 s25, s25, 0x40000                                 // 000000002FFC: 8719FF19 00040000
	s_or_b32 s13, s13, 0x40000                                 // 000000003004: 870DFF0D 00040000
	s_or_b32 s41, s41, 0x40000                                 // 00000000300C: 8729FF29 00040000
	s_or_b32 s29, s29, 0x40000                                 // 000000003014: 871DFF1D 00040000
	s_or_b32 s33, s33, 0x40000                                 // 00000000301C: 8721FF21 00040000
	s_or_b32 s37, s37, 0x40000                                 // 000000003024: 8725FF25 00040000
	s_or_b32 s17, s17, 0x40000                                 // 00000000302C: 8711FF11 00040000
	v_accvgpr_write_b32 a223, 0                                // 000000003034: D3D940DF 18000080
	v_mov_b32_e32 v247, 0                                      // 00000000303C: 7FEE0280
	s_waitcnt lgkmcnt(0)                                       // 000000003040: BF8CC07F
	s_mul_i32 s60, s3, 32                                      // 000000003044: 923CA003
	s_cmp_lt_i32 s60, s50                                      // 000000003048: BF04323C
	s_cbranch_scc0 label_1BC2                                  // 00000000304C: BF841B2E
	s_mov_b32 s80, 0                                           // 000000003050: BED00080
	s_mov_b32 s81, s64                                         // 000000003054: BED10040
	s_mul_i32 s60, s3, 4                                       // 000000003058: 923C8403
	s_add_u32 s46, s60, s46                                    // 00000000305C: 802E2E3C
	s_addc_u32 s47, 0, s47                                     // 000000003060: 822F2F80
	s_load_dword s5, s[46:47], 0x0                             // 000000003064: C0020157 00000000
	s_mul_i32 s60, s3, 32                                      // 00000000306C: 923CA003
	s_mul_i32 s60, 4, s60                                      // 000000003070: 923C3C84
	v_and_b32_e32 v50, 15, v0                                  // 000000003074: 2664008F
	v_lshlrev_b32_e32 v50, 2, v50                              // 000000003078: 24646482
	v_add_u32_e32 v50, s60, v50                                // 00000000307C: 6864643C
	v_mov_b32_e32 v51, 0                                       // 000000003080: 7E660280
	global_load_dword v6, v50, s[44:45]                        // 000000003084: DC508000 062C0032
	v_add_u32_e32 v50, 64, v50                                 // 00000000308C: 686464C0
	global_load_dword v7, v50, s[44:45]                        // 000000003090: DC508000 072C0032
	s_mul_i32 s60, s3, 32                                      // 000000003098: 923CA003
	s_add_u32 s60, s7, s60                                     // 00000000309C: 803C3C07
	s_mul_i32 s60, 4, s60                                      // 0000000030A0: 923C3C84
	s_add_u32 s44, s60, s44                                    // 0000000030A4: 802C2C3C
	s_addc_u32 s45, 0, s45                                     // 0000000030A8: 822D2D80
	s_load_dword s82, s[44:45], 0x0                            // 0000000030AC: C0021496 00000000
	s_load_dword s83, s[44:45], 0x10                           // 0000000030B4: C00214D6 00000010
	s_load_dword s84, s[44:45], 0x20                           // 0000000030BC: C0021516 00000020
	s_load_dword s85, s[44:45], 0x30                           // 0000000030C4: C0021556 00000030
	s_load_dword s86, s[44:45], 0x40                           // 0000000030CC: C0021596 00000040
	s_load_dword s87, s[44:45], 0x50                           // 0000000030D4: C00215D6 00000050
	s_load_dword s88, s[44:45], 0x60                           // 0000000030DC: C0021616 00000060
	s_load_dword s89, s[44:45], 0x70                           // 0000000030E4: C0021656 00000070
	s_waitcnt lgkmcnt(0)                                       // 0000000030EC: BF8CC07F
	v_lshlrev_b32_e32 v50, 2, v0                               // 0000000030F0: 24640082
	s_lshr_b32 s61, s82, 24                                    // 0000000030F4: 8F3D9852
	s_mul_i32 s61, s61, s68                                    // 0000000030F8: 923D443D
	s_mul_i32 s61, s61, s66                                    // 0000000030FC: 923D423D
	s_and_b32 s82, s82, 0xffffff                               // 000000003100: 8652FF52 00FFFFFF
	s_mul_i32 s60, s82, s68                                    // 000000003108: 923C4452
	s_add_u32 s60, s61, s60                                    // 00000000310C: 803C3C3D
	v_add_u32_e64 v26, v50, s60                                // 000000003110: D134001A 00007932
	s_lshr_b32 s61, s83, 24                                    // 000000003118: 8F3D9853
	s_mul_i32 s61, s61, s68                                    // 00000000311C: 923D443D
	s_mul_i32 s61, s61, s66                                    // 000000003120: 923D423D
	s_and_b32 s83, s83, 0xffffff                               // 000000003124: 8653FF53 00FFFFFF
	s_mul_i32 s60, s83, s68                                    // 00000000312C: 923C4453
	s_add_u32 s60, s61, s60                                    // 000000003130: 803C3C3D
	v_add_u32_e64 v27, v50, s60                                // 000000003134: D134001B 00007932
	s_lshr_b32 s61, s84, 24                                    // 00000000313C: 8F3D9854
	s_mul_i32 s61, s61, s68                                    // 000000003140: 923D443D
	s_mul_i32 s61, s61, s66                                    // 000000003144: 923D423D
	s_and_b32 s84, s84, 0xffffff                               // 000000003148: 8654FF54 00FFFFFF
	s_mul_i32 s60, s84, s68                                    // 000000003150: 923C4454
	s_add_u32 s60, s61, s60                                    // 000000003154: 803C3C3D
	v_add_u32_e64 v28, v50, s60                                // 000000003158: D134001C 00007932
	s_lshr_b32 s61, s85, 24                                    // 000000003160: 8F3D9855
	s_mul_i32 s61, s61, s68                                    // 000000003164: 923D443D
	s_mul_i32 s61, s61, s66                                    // 000000003168: 923D423D
	s_and_b32 s85, s85, 0xffffff                               // 00000000316C: 8655FF55 00FFFFFF
	s_mul_i32 s60, s85, s68                                    // 000000003174: 923C4455
	s_add_u32 s60, s61, s60                                    // 000000003178: 803C3C3D
	v_add_u32_e64 v29, v50, s60                                // 00000000317C: D134001D 00007932
	s_lshr_b32 s61, s86, 24                                    // 000000003184: 8F3D9856
	s_mul_i32 s61, s61, s68                                    // 000000003188: 923D443D
	s_mul_i32 s61, s61, s66                                    // 00000000318C: 923D423D
	s_and_b32 s86, s86, 0xffffff                               // 000000003190: 8656FF56 00FFFFFF
	s_mul_i32 s60, s86, s68                                    // 000000003198: 923C4456
	s_add_u32 s60, s61, s60                                    // 00000000319C: 803C3C3D
	v_add_u32_e64 v30, v50, s60                                // 0000000031A0: D134001E 00007932
	s_lshr_b32 s61, s87, 24                                    // 0000000031A8: 8F3D9857
	s_mul_i32 s61, s61, s68                                    // 0000000031AC: 923D443D
	s_mul_i32 s61, s61, s66                                    // 0000000031B0: 923D423D
	s_and_b32 s87, s87, 0xffffff                               // 0000000031B4: 8657FF57 00FFFFFF
	s_mul_i32 s60, s87, s68                                    // 0000000031BC: 923C4457
	s_add_u32 s60, s61, s60                                    // 0000000031C0: 803C3C3D
	v_add_u32_e64 v31, v50, s60                                // 0000000031C4: D134001F 00007932
	s_lshr_b32 s61, s88, 24                                    // 0000000031CC: 8F3D9858
	s_mul_i32 s61, s61, s68                                    // 0000000031D0: 923D443D
	s_mul_i32 s61, s61, s66                                    // 0000000031D4: 923D423D
	s_and_b32 s88, s88, 0xffffff                               // 0000000031D8: 8658FF58 00FFFFFF
	s_mul_i32 s60, s88, s68                                    // 0000000031E0: 923C4458
	s_add_u32 s60, s61, s60                                    // 0000000031E4: 803C3C3D
	v_add_u32_e64 v32, v50, s60                                // 0000000031E8: D1340020 00007932
	s_lshr_b32 s61, s89, 24                                    // 0000000031F0: 8F3D9859
	s_mul_i32 s61, s61, s68                                    // 0000000031F4: 923D443D
	s_mul_i32 s61, s61, s66                                    // 0000000031F8: 923D423D
	s_and_b32 s89, s89, 0xffffff                               // 0000000031FC: 8659FF59 00FFFFFF
	s_mul_i32 s60, s89, s68                                    // 000000003204: 923C4459
	s_add_u32 s60, s61, s60                                    // 000000003208: 803C3C3D
	v_add_u32_e64 v33, v50, s60                                // 00000000320C: D1340021 00007932
	v_lshlrev_b32_e32 v50, 2, v0                               // 000000003214: 24640082
	s_mul_i32 s60, s82, s71                                    // 000000003218: 923C4752
	v_add_u32_e64 v80, v50, s60                                // 00000000321C: D1340050 00007932
	v_mov_b32_e32 v81, 0                                       // 000000003224: 7EA20280
	s_mul_i32 s60, s83, s71                                    // 000000003228: 923C4753
	v_add_u32_e64 v82, v50, s60                                // 00000000322C: D1340052 00007932
	v_mov_b32_e32 v83, 0                                       // 000000003234: 7EA60280
	s_mul_i32 s60, s84, s71                                    // 000000003238: 923C4754
	v_add_u32_e64 v84, v50, s60                                // 00000000323C: D1340054 00007932
	v_mov_b32_e32 v85, 0                                       // 000000003244: 7EAA0280
	s_mul_i32 s60, s85, s71                                    // 000000003248: 923C4755
	v_add_u32_e64 v86, v50, s60                                // 00000000324C: D1340056 00007932
	v_mov_b32_e32 v87, 0                                       // 000000003254: 7EAE0280
	s_mul_i32 s60, s86, s71                                    // 000000003258: 923C4756
	v_add_u32_e64 v88, v50, s60                                // 00000000325C: D1340058 00007932
	v_mov_b32_e32 v89, 0                                       // 000000003264: 7EB20280
	s_mul_i32 s60, s87, s71                                    // 000000003268: 923C4757
	v_add_u32_e64 v90, v50, s60                                // 00000000326C: D134005A 00007932
	v_mov_b32_e32 v91, 0                                       // 000000003274: 7EB60280
	s_mul_i32 s60, s88, s71                                    // 000000003278: 923C4758
	v_add_u32_e64 v92, v50, s60                                // 00000000327C: D134005C 00007932
	v_mov_b32_e32 v93, 0                                       // 000000003284: 7EBA0280
	s_mul_i32 s60, s89, s71                                    // 000000003288: 923C4759
	v_add_u32_e64 v94, v50, s60                                // 00000000328C: D134005E 00007932
	v_mov_b32_e32 v95, 0                                       // 000000003294: 7EBE0280
	s_mul_i32 s60, s7, 0x820                                   // 000000003298: 923CFF07 00000820
	s_add_u32 s50, 0, s60                                      // 0000000032A0: 80323C80
	s_add_u32 s51, 0x2080, s50                                 // 0000000032A4: 803332FF 00002080
	v_lshrrev_b32_e32 v50, 4, v0                               // 0000000032AC: 20640084
	v_lshlrev_b32_e32 v51, 2, v50                              // 0000000032B0: 24666482
	v_and_b32_e32 v50, 15, v0                                  // 0000000032B4: 2664008F
	v_lshrrev_b32_e32 v52, 2, v50                              // 0000000032B8: 20686482
	v_lshlrev_b32_e32 v52, 6, v52                              // 0000000032BC: 24686886
	v_add_u32_e32 v51, v52, v51                                // 0000000032C0: 68666734
	v_and_b32_e32 v50, 3, v0                                   // 0000000032C4: 26640083
	v_mul_i32_i24_e32 v52, 0x208, v50                          // 0000000032C8: 0C6864FF 00000208
	v_add_u32_e32 v51, v52, v51                                // 0000000032D0: 68666734
	v_lshlrev_b32_e32 v2, 2, v51                               // 0000000032D4: 24046682
	s_mul_i32 s60, s2, 0x1c0                                   // 0000000032D8: 923CFF02 000001C0
	s_mul_i32 s60, s60, s69                                    // 0000000032E0: 923C453C
	s_mul_i32 s61, s5, s72                                     // 0000000032E4: 923D4805
	s_add_u32 s60, s61, s60                                    // 0000000032E8: 803C3C3D
	s_add_u32 s24, s60, s24                                    // 0000000032EC: 8018183C
	s_addc_u32 s25, 0, s25                                     // 0000000032F0: 82191980
	s_mul_i32 s60, s7, 16                                      // 0000000032F4: 923C9007
	s_mul_i32 s60, s60, s69                                    // 0000000032F8: 923C453C
	v_lshlrev_b32_e32 v34, 4, v0                               // 0000000032FC: 24440084
	v_add_u32_e32 v34, s60, v34                                // 000000003300: 6844443C
	s_mul_i32 s60, 64, s69                                     // 000000003304: 923C45C0
	v_add_u32_e32 v35, s60, v34                                // 000000003308: 6846443C
	v_add_u32_e32 v36, s60, v35                                // 00000000330C: 6848463C
	v_add_u32_e32 v37, s60, v36                                // 000000003310: 684A483C
	v_add_u32_e32 v38, s60, v37                                // 000000003314: 684C4A3C
	v_add_u32_e32 v39, s60, v38                                // 000000003318: 684E4C3C
	v_add_u32_e32 v40, s60, v39                                // 00000000331C: 68504E3C
	s_mul_i32 s60, s2, 0x1c00                                  // 000000003320: 923CFF02 00001C00
	s_mul_i32 s61, s5, s73                                     // 000000003328: 923D4905
	s_add_u32 s60, s61, s60                                    // 00000000332C: 803C3C3D
	s_add_u32 s12, s60, s12                                    // 000000003330: 800C0C3C
	s_addc_u32 s13, 0, s13                                     // 000000003334: 820D0D80
	s_mul_i32 s60, s7, 16                                      // 000000003338: 923C9007
	s_mul_i32 s60, s60, s70                                    // 00000000333C: 923C463C
	v_lshlrev_b32_e32 v41, 4, v0                               // 000000003340: 24520084
	v_add_u32_e32 v41, s60, v41                                // 000000003344: 6852523C
	s_mul_i32 s60, 64, s70                                     // 000000003348: 923C46C0
	v_add_u32_e32 v42, s60, v41                                // 00000000334C: 6854523C
	v_add_u32_e32 v43, s60, v42                                // 000000003350: 6856543C
	v_add_u32_e32 v44, s60, v43                                // 000000003354: 6858563C
	s_mul_i32 s60, s3, 32                                      // 000000003358: 923CA003
	s_mul_i32 s60, 4, s60                                      // 00000000335C: 923C3C84
	s_add_u32 s40, s60, s40                                    // 000000003360: 8028283C
	s_addc_u32 s41, 0, s41                                     // 000000003364: 82292980
	v_and_b32_e32 v50, 15, v0                                  // 000000003368: 2664008F
	v_lshlrev_b32_e32 v8, 2, v50                               // 00000000336C: 24106482
	v_add_u32_e32 v9, 64, v8                                   // 000000003370: 681210C0
	v_lshrrev_b32_e32 v50, 4, v0                               // 000000003374: 20640084
	v_lshlrev_b32_e32 v51, 2, v50                              // 000000003378: 24666482
	v_and_b32_e32 v50, 15, v0                                  // 00000000337C: 2664008F
	v_lshrrev_b32_e32 v52, 2, v50                              // 000000003380: 20686482
	v_lshlrev_b32_e32 v52, 6, v52                              // 000000003384: 24686886
	v_add_u32_e32 v51, v52, v51                                // 000000003388: 68666734
	v_and_b32_e32 v50, 3, v0                                   // 00000000338C: 26640083
	v_add_u32_e32 v51, v50, v51                                // 000000003390: 68666732
	v_lshlrev_b32_e32 v10, 2, v51                              // 000000003394: 24146682
	v_add_u32_e32 v11, 0x400, v10                              // 000000003398: 681614FF 00000400
	s_mul_i32 s60, s7, 16                                      // 0000000033A0: 923C9007
	s_mul_i32 s60, s60, 4                                      // 0000000033A4: 923C843C
	v_add_u32_e32 v10, s60, v10                                // 0000000033A8: 6814143C
	v_add_u32_e32 v11, s60, v11                                // 0000000033AC: 6816163C
	v_mov_b32_e32 v5, v10                                      // 0000000033B0: 7E0A030A
	s_mul_i32 s60, s2, 0x1c0                                   // 0000000033B4: 923CFF02 000001C0
	s_mul_i32 s60, s60, 4                                      // 0000000033BC: 923C843C
	s_mul_i32 s61, s5, s74                                     // 0000000033C0: 923D4A05
	s_add_u32 s61, s61, s60                                    // 0000000033C4: 803D3C3D
	s_mul_i32 s62, s5, s76                                     // 0000000033C8: 923E4C05
	s_add_u32 s62, s62, s60                                    // 0000000033CC: 803E3C3E
	s_add_u32 s32, s61, s32                                    // 0000000033D0: 8020203D
	s_addc_u32 s33, 0, s33                                     // 0000000033D4: 82212180
	s_add_u32 s36, s62, s36                                    // 0000000033D8: 8024243E
	s_addc_u32 s37, 0, s37                                     // 0000000033DC: 82252580
	s_mul_i32 s60, s5, s75                                     // 0000000033E0: 923C4B05
	s_add_u32 s16, s60, s16                                    // 0000000033E4: 8010103C
	s_addc_u32 s17, 0, s17                                     // 0000000033E8: 82111180
	s_mov_b32 s57, 0x100                                       // 0000000033EC: BEB900FF 00000100
	s_mov_b32 s58, 0x1000                                      // 0000000033F4: BEBA00FF 00001000
	s_mov_b32 s79, 0x400                                       // 0000000033FC: BECF00FF 00000400
	s_mov_b32 s59, 0x200                                       // 000000003404: BEBB00FF 00000200
	s_mul_i32 s60, s70, 0x100                                  // 00000000340C: 923CFF46 00000100
	s_mov_b32 s78, 0x400                                       // 000000003414: BECE00FF 00000400
	s_mul_i32 s61, s78, 6                                      // 00000000341C: 923D864E
	s_sub_u32 s56, s60, s61                                    // 000000003420: 80B83D3C
	s_mov_b32 s52, 0x7060302                                   // 000000003424: BEB400FF 07060302
	s_mov_b32 s53, 0x400                                       // 00000000342C: BEB500FF 00000400
	s_mov_b32 s54, 0x40100                                     // 000000003434: BEB600FF 00040100
	s_mov_b32 s55, 0x4020100                                   // 00000000343C: BEB700FF 04020100
	s_mov_b32 s6, 0x3fb8aa3b                                   // 000000003444: BE8600FF 3FB8AA3B
	s_mov_b32 s77, 0xbd92220c                                  // 00000000344C: BECD00FF BD92220C
	s_mov_b32 m0, s50                                          // 000000003454: BEFC0032
	v_mov_b32_e32 v1, 0xbfcc4231                               // 000000003458: 7E0202FF BFCC4231
	v_mov_b32_e32 v46, 0xffff0000                              // 000000003460: 7E5C02FF FFFF0000
	v_mov_b32_e32 v47, 0x7fff0000                              // 000000003468: 7E5E02FF 7FFF0000
	v_mov_b32_e32 v48, 0x7fff                                  // 000000003470: 7E6002FF 00007FFF
	s_waitcnt vmcnt(0) expcnt(0) lgkmcnt(0)                    // 000000003478: BF8C0000
	v_lshrrev_b32_e32 v50, 24, v6                              // 00000000347C: 20640C98
	v_mul_i32_i24_e32 v50, s66, v50                            // 000000003480: 0C646442
	v_and_b32_e32 v51, 0xffffff, v6                            // 000000003484: 26660CFF 00FFFFFF
	v_add_u32_e32 v6, v50, v51                                 // 00000000348C: 680C6732
	v_lshrrev_b32_e32 v50, 24, v7                              // 000000003490: 20640E98
	v_mul_i32_i24_e32 v50, s66, v50                            // 000000003494: 0C646442
	v_and_b32_e32 v51, 0xffffff, v7                            // 000000003498: 26660EFF 00FFFFFF
	v_add_u32_e32 v7, v50, v51                                 // 0000000034A0: 680E6732
	v_lshlrev_b32_e32 v6, 2, v6                                // 0000000034A4: 240C0C82
	v_lshlrev_b32_e32 v7, 2, v7                                // 0000000034A8: 240E0E82
	buffer_load_dword v14, v6, s[28:31], 0 offen               // 0000000034AC: E0501000 80070E06
	buffer_load_dword v15, v7, s[28:31], 0 offen               // 0000000034B4: E0501000 80070F07
	buffer_load_dword v16, v10, s[32:35], 0 offen              // 0000000034BC: E0501000 8008100A
	buffer_load_dword v17, v11, s[32:35], 0 offen              // 0000000034C4: E0501000 8008110B
	buffer_load_dword v18, v10, s[36:39], 0 offen              // 0000000034CC: E0501000 8009120A
	buffer_load_dword v19, v11, s[36:39], 0 offen              // 0000000034D4: E0501000 8009130B
	buffer_load_dword v20, v8, s[40:43], 0 offen               // 0000000034DC: E0501000 800A1408
	buffer_load_dword v21, v9, s[40:43], 0 offen               // 0000000034E4: E0501000 800A1509
	buffer_load_dword v26, s[20:23], 0 offen lds               // 0000000034EC: E0511000 8005001A
	s_add_u32 m0, 0x100, s50                                   // 0000000034F4: 807C32FF 00000100
	buffer_load_dword v27, s[20:23], 0 offen lds               // 0000000034FC: E0511000 8005001B
	s_add_u32 m0, 0x200, s50                                   // 000000003504: 807C32FF 00000200
	buffer_load_dword v28, s[20:23], 0 offen lds               // 00000000350C: E0511000 8005001C
	s_add_u32 m0, 0x300, s50                                   // 000000003514: 807C32FF 00000300
	buffer_load_dword v29, s[20:23], 0 offen lds               // 00000000351C: E0511000 8005001D
	s_add_u32 m0, 0x400, s50                                   // 000000003524: 807C32FF 00000400
	buffer_load_dword v30, s[20:23], 0 offen lds               // 00000000352C: E0511000 8005001E
	s_add_u32 m0, 0x500, s50                                   // 000000003534: 807C32FF 00000500
	buffer_load_dword v31, s[20:23], 0 offen lds               // 00000000353C: E0511000 8005001F
	s_add_u32 m0, 0x600, s50                                   // 000000003544: 807C32FF 00000600
	buffer_load_dword v32, s[20:23], 0 offen lds               // 00000000354C: E0511000 80050020
	s_add_u32 m0, 0x700, s50                                   // 000000003554: 807C32FF 00000700
	buffer_load_dword v33, s[20:23], 0 offen lds               // 00000000355C: E0511000 80050021
	s_add_u32 m0, 0, s51                                       // 000000003564: 807C3380
	s_add_u32 s20, s57, s20                                    // 000000003568: 80141439
	s_addc_u32 s21, 0, s21                                     // 00000000356C: 82151580
	buffer_load_dword v26, s[20:23], 0 offen lds               // 000000003570: E0511000 8005001A
	s_add_u32 m0, 0x100, s51                                   // 000000003578: 807C33FF 00000100
	buffer_load_dword v27, s[20:23], 0 offen lds               // 000000003580: E0511000 8005001B
	s_add_u32 m0, 0x200, s51                                   // 000000003588: 807C33FF 00000200
	buffer_load_dword v28, s[20:23], 0 offen lds               // 000000003590: E0511000 8005001C
	s_add_u32 m0, 0x300, s51                                   // 000000003598: 807C33FF 00000300
	buffer_load_dword v29, s[20:23], 0 offen lds               // 0000000035A0: E0511000 8005001D
	s_add_u32 m0, 0x400, s51                                   // 0000000035A8: 807C33FF 00000400
	buffer_load_dword v30, s[20:23], 0 offen lds               // 0000000035B0: E0511000 8005001E
	s_add_u32 m0, 0x500, s51                                   // 0000000035B8: 807C33FF 00000500
	buffer_load_dword v31, s[20:23], 0 offen lds               // 0000000035C0: E0511000 8005001F
	s_add_u32 m0, 0x600, s51                                   // 0000000035C8: 807C33FF 00000600
	buffer_load_dword v32, s[20:23], 0 offen lds               // 0000000035D0: E0511000 80050020
	s_add_u32 m0, 0x700, s51                                   // 0000000035D8: 807C33FF 00000700
	buffer_load_dword v33, s[20:23], 0 offen lds               // 0000000035E0: E0511000 80050021
	s_add_u32 m0, 0, s50                                       // 0000000035E8: 807C3280
	s_add_u32 s20, s57, s20                                    // 0000000035EC: 80141439
	s_addc_u32 s21, 0, s21                                     // 0000000035F0: 82151580
	buffer_load_dwordx4 a[0:3], v34, s[24:27], 0 offen         // 0000000035F4: E05C1000 80860022
	buffer_load_dwordx4 a[4:7], v34, s[24:27], 0 offen offset:1024// 0000000035FC: E05C1400 80860422
	buffer_load_dwordx4 a[8:11], v34, s[24:27], 0 offen offset:2048// 000000003604: E05C1800 80860822
	buffer_load_dwordx4 a[12:15], v34, s[24:27], 0 offen offset:3072// 00000000360C: E05C1C00 80860C22
	buffer_load_dwordx4 a[16:19], v35, s[24:27], 0 offen       // 000000003614: E05C1000 80861023
	buffer_load_dwordx4 a[20:23], v35, s[24:27], 0 offen offset:1024// 00000000361C: E05C1400 80861423
	buffer_load_dwordx4 a[24:27], v35, s[24:27], 0 offen offset:2048// 000000003624: E05C1800 80861823
	buffer_load_dwordx4 a[28:31], v35, s[24:27], 0 offen offset:3072// 00000000362C: E05C1C00 80861C23
	buffer_load_dwordx4 a[32:35], v36, s[24:27], 0 offen       // 000000003634: E05C1000 80862024
	buffer_load_dwordx4 a[36:39], v36, s[24:27], 0 offen offset:1024// 00000000363C: E05C1400 80862424
	buffer_load_dwordx4 a[40:43], v36, s[24:27], 0 offen offset:2048// 000000003644: E05C1800 80862824
	buffer_load_dwordx4 a[44:47], v36, s[24:27], 0 offen offset:3072// 00000000364C: E05C1C00 80862C24
	buffer_load_dwordx4 a[48:51], v37, s[24:27], 0 offen       // 000000003654: E05C1000 80863025
	buffer_load_dwordx4 a[52:55], v37, s[24:27], 0 offen offset:1024// 00000000365C: E05C1400 80863425
	buffer_load_dwordx4 a[56:59], v37, s[24:27], 0 offen offset:2048// 000000003664: E05C1800 80863825
	buffer_load_dwordx4 a[60:63], v37, s[24:27], 0 offen offset:3072// 00000000366C: E05C1C00 80863C25
	buffer_load_dwordx4 a[64:67], v38, s[24:27], 0 offen       // 000000003674: E05C1000 80864026
	buffer_load_dwordx4 a[68:71], v38, s[24:27], 0 offen offset:1024// 00000000367C: E05C1400 80864426
	buffer_load_dwordx4 a[72:75], v38, s[24:27], 0 offen offset:2048// 000000003684: E05C1800 80864826
	buffer_load_dwordx4 a[76:79], v38, s[24:27], 0 offen offset:3072// 00000000368C: E05C1C00 80864C26
	buffer_load_dwordx4 a[80:83], v39, s[24:27], 0 offen       // 000000003694: E05C1000 80865027
	buffer_load_dwordx4 a[84:87], v39, s[24:27], 0 offen offset:1024// 00000000369C: E05C1400 80865427
	buffer_load_dwordx4 a[88:91], v39, s[24:27], 0 offen offset:2048// 0000000036A4: E05C1800 80865827
	buffer_load_dwordx4 a[92:95], v39, s[24:27], 0 offen offset:3072// 0000000036AC: E05C1C00 80865C27
	buffer_load_dwordx4 a[96:99], v40, s[24:27], 0 offen       // 0000000036B4: E05C1000 80866028
	buffer_load_dwordx4 a[100:103], v40, s[24:27], 0 offen offset:1024// 0000000036BC: E05C1400 80866428
	buffer_load_dwordx4 a[104:107], v40, s[24:27], 0 offen offset:2048// 0000000036C4: E05C1800 80866828
	buffer_load_dwordx4 a[108:111], v40, s[24:27], 0 offen offset:3072// 0000000036CC: E05C1C00 80866C28
	s_add_u32 s24, s58, s24                                    // 0000000036D4: 8018183A
	s_addc_u32 s25, 0, s25                                     // 0000000036D8: 82191980
	v_mov_b32_e32 v128, 0                                      // 0000000036DC: 7F000280
	v_mov_b32_e32 v129, 0                                      // 0000000036E0: 7F020280
	v_mov_b32_e32 v130, 0                                      // 0000000036E4: 7F040280
	v_mov_b32_e32 v131, 0                                      // 0000000036E8: 7F060280
	v_mov_b32_e32 v132, 0                                      // 0000000036EC: 7F080280
	v_mov_b32_e32 v133, 0                                      // 0000000036F0: 7F0A0280
	v_mov_b32_e32 v134, 0                                      // 0000000036F4: 7F0C0280
	v_mov_b32_e32 v135, 0                                      // 0000000036F8: 7F0E0280
	v_mov_b32_e32 v136, 0                                      // 0000000036FC: 7F100280
	v_mov_b32_e32 v137, 0                                      // 000000003700: 7F120280
	v_mov_b32_e32 v138, 0                                      // 000000003704: 7F140280
	v_mov_b32_e32 v139, 0                                      // 000000003708: 7F160280
	v_mov_b32_e32 v140, 0                                      // 00000000370C: 7F180280
	v_mov_b32_e32 v141, 0                                      // 000000003710: 7F1A0280
	v_mov_b32_e32 v142, 0                                      // 000000003714: 7F1C0280
	v_mov_b32_e32 v143, 0                                      // 000000003718: 7F1E0280
	v_mov_b32_e32 v144, 0                                      // 00000000371C: 7F200280
	v_mov_b32_e32 v145, 0                                      // 000000003720: 7F220280
	v_mov_b32_e32 v146, 0                                      // 000000003724: 7F240280
	v_mov_b32_e32 v147, 0                                      // 000000003728: 7F260280
	v_mov_b32_e32 v148, 0                                      // 00000000372C: 7F280280
	v_mov_b32_e32 v149, 0                                      // 000000003730: 7F2A0280
	v_mov_b32_e32 v150, 0                                      // 000000003734: 7F2C0280
	v_mov_b32_e32 v151, 0                                      // 000000003738: 7F2E0280
	v_mov_b32_e32 v152, 0                                      // 00000000373C: 7F300280
	v_mov_b32_e32 v153, 0                                      // 000000003740: 7F320280
	v_mov_b32_e32 v154, 0                                      // 000000003744: 7F340280
	v_mov_b32_e32 v155, 0                                      // 000000003748: 7F360280
	v_mov_b32_e32 v156, 0                                      // 00000000374C: 7F380280
	v_mov_b32_e32 v157, 0                                      // 000000003750: 7F3A0280
	v_mov_b32_e32 v158, 0                                      // 000000003754: 7F3C0280
	v_mov_b32_e32 v159, 0                                      // 000000003758: 7F3E0280
	v_mov_b32_e32 v160, 0                                      // 00000000375C: 7F400280
	v_mov_b32_e32 v161, 0                                      // 000000003760: 7F420280
	v_mov_b32_e32 v162, 0                                      // 000000003764: 7F440280
	v_mov_b32_e32 v163, 0                                      // 000000003768: 7F460280
	v_mov_b32_e32 v164, 0                                      // 00000000376C: 7F480280
	v_mov_b32_e32 v165, 0                                      // 000000003770: 7F4A0280
	v_mov_b32_e32 v166, 0                                      // 000000003774: 7F4C0280
	v_mov_b32_e32 v167, 0                                      // 000000003778: 7F4E0280
	v_mov_b32_e32 v168, 0                                      // 00000000377C: 7F500280
	v_mov_b32_e32 v169, 0                                      // 000000003780: 7F520280
	v_mov_b32_e32 v170, 0                                      // 000000003784: 7F540280
	v_mov_b32_e32 v171, 0                                      // 000000003788: 7F560280
	v_mov_b32_e32 v172, 0                                      // 00000000378C: 7F580280
	v_mov_b32_e32 v173, 0                                      // 000000003790: 7F5A0280
	v_mov_b32_e32 v174, 0                                      // 000000003794: 7F5C0280
	v_mov_b32_e32 v175, 0                                      // 000000003798: 7F5E0280
	v_mov_b32_e32 v176, 0                                      // 00000000379C: 7F600280
	v_mov_b32_e32 v177, 0                                      // 0000000037A0: 7F620280
	v_mov_b32_e32 v178, 0                                      // 0000000037A4: 7F640280
	v_mov_b32_e32 v179, 0                                      // 0000000037A8: 7F660280
	v_mov_b32_e32 v180, 0                                      // 0000000037AC: 7F680280
	v_mov_b32_e32 v181, 0                                      // 0000000037B0: 7F6A0280
	v_mov_b32_e32 v182, 0                                      // 0000000037B4: 7F6C0280
	v_mov_b32_e32 v183, 0                                      // 0000000037B8: 7F6E0280
	v_lshrrev_b32_e32 v50, 4, v0                               // 0000000037BC: 20640084
	v_mul_i32_i24_e32 v3, 34, v50                              // 0000000037C0: 0C0664A2
	v_and_b32_e32 v50, 15, v0                                  // 0000000037C4: 2664008F
	v_mul_i32_i24_e32 v51, 2, v50                              // 0000000037C8: 0C666482
	v_add_u32_e32 v3, v51, v3                                  // 0000000037CC: 68060733
	s_mul_i32 s60, s7, 0x88                                    // 0000000037D0: 923CFF07 00000088
	v_add_u32_e32 v3, s60, v3                                  // 0000000037D8: 6806063C
	v_lshlrev_b32_e32 v3, 2, v3                                // 0000000037DC: 24060682
	v_lshrrev_b32_e32 v50, 1, v0                               // 0000000037E0: 20640081
	v_mul_i32_i24_e32 v4, 34, v50                              // 0000000037E4: 0C0864A2
	v_and_b32_e32 v51, 1, v0                                   // 0000000037E8: 26660081
	v_add_u32_e32 v4, v51, v4                                  // 0000000037EC: 68080933
	s_mul_i32 s60, s7, 2                                       // 0000000037F0: 923C8207
	v_add_u32_e32 v4, s60, v4                                  // 0000000037F4: 6808083C
	v_lshlrev_b32_e32 v4, 2, v4                                // 0000000037F8: 24080882
	s_waitcnt vmcnt(36)                                        // 0000000037FC: BF8C8F74
	s_barrier                                                  // 000000003800: BF8A0000
	ds_read_b128 v[184:187], v2                                // 000000003804: D9FE0000 B8000002
	ds_read_b128 v[188:191], v2 offset:64                      // 00000000380C: D9FE0040 BC000002
	ds_read_b128 v[192:195], v2 offset:128                     // 000000003814: D9FE0080 C0000002
	ds_read_b128 v[196:199], v2 offset:192                     // 00000000381C: D9FE00C0 C4000002
	ds_read_b128 v[200:203], v2 offset:1024                    // 000000003824: D9FE0400 C8000002
	ds_read_b128 v[204:207], v2 offset:1088                    // 00000000382C: D9FE0440 CC000002
	ds_read_b128 v[208:211], v2 offset:1152                    // 000000003834: D9FE0480 D0000002
	ds_read_b128 v[212:215], v2 offset:1216                    // 00000000383C: D9FE04C0 D4000002
	s_cmp_lt_i32 s7, 2                                         // 000000003844: BF048207
	s_cbranch_scc0 label_0F2C                                  // 000000003848: BF840C99

000000000000384c <label_0293>:
	s_waitcnt vmcnt(20) lgkmcnt(0)                             // 00000000384C: BF8C4074
	s_barrier                                                  // 000000003850: BF8A0000
	v_mfma_i32_16x16x32_i8 v[128:131], a[0:1], v[184:185], v[128:131]// 000000003854: D3D70080 0E037100
	v_mfma_i32_16x16x32_i8 v[128:131], a[2:3], v[186:187], v[128:131]// 00000000385C: D3D70080 0E037502
	buffer_load_dwordx4 a[112:115], v34, s[24:27], 0 offen     // 000000003864: E05C1000 80867022
	v_mfma_i32_16x16x32_i8 v[128:131], a[4:5], v[188:189], v[128:131]// 00000000386C: D3D70080 0E037904
	v_mfma_i32_16x16x32_i8 v[128:131], a[6:7], v[190:191], v[128:131]// 000000003874: D3D70080 0E037D06
	buffer_load_dword v26, s[20:23], 0 offen lds               // 00000000387C: E0511000 8005001A
	s_add_u32 m0, 0x100, s50                                   // 000000003884: 807C32FF 00000100
	v_mfma_i32_16x16x32_i8 v[128:131], a[8:9], v[192:193], v[128:131]// 00000000388C: D3D70080 0E038108
	v_mfma_i32_16x16x32_i8 v[128:131], a[10:11], v[194:195], v[128:131]// 000000003894: D3D70080 0E03850A
	buffer_load_dwordx4 a[116:119], v34, s[24:27], 0 offen offset:1024// 00000000389C: E05C1400 80867422
	v_mfma_i32_16x16x32_i8 v[128:131], a[12:13], v[196:197], v[128:131]// 0000000038A4: D3D70080 0E03890C
	v_mfma_i32_16x16x32_i8 v[128:131], a[14:15], v[198:199], v[128:131]// 0000000038AC: D3D70080 0E038D0E
	buffer_load_dword v27, s[20:23], 0 offen lds               // 0000000038B4: E0511000 8005001B
	s_add_u32 m0, 0x200, s50                                   // 0000000038BC: 807C32FF 00000200
	v_mfma_i32_16x16x32_i8 v[132:135], a[0:1], v[200:201], v[132:135]// 0000000038C4: D3D70084 0E139100
	v_mfma_i32_16x16x32_i8 v[132:135], a[2:3], v[202:203], v[132:135]// 0000000038CC: D3D70084 0E139502
	buffer_load_dwordx4 a[120:123], v34, s[24:27], 0 offen offset:2048// 0000000038D4: E05C1800 80867822
	v_mfma_i32_16x16x32_i8 v[132:135], a[4:5], v[204:205], v[132:135]// 0000000038DC: D3D70084 0E139904
	v_mfma_i32_16x16x32_i8 v[132:135], a[6:7], v[206:207], v[132:135]// 0000000038E4: D3D70084 0E139D06
	buffer_load_dword v28, s[20:23], 0 offen lds               // 0000000038EC: E0511000 8005001C
	s_add_u32 m0, 0x300, s50                                   // 0000000038F4: 807C32FF 00000300
	v_mfma_i32_16x16x32_i8 v[132:135], a[8:9], v[208:209], v[132:135]// 0000000038FC: D3D70084 0E13A108
	v_mfma_i32_16x16x32_i8 v[132:135], a[10:11], v[210:211], v[132:135]// 000000003904: D3D70084 0E13A50A
	buffer_load_dwordx4 a[124:127], v34, s[24:27], 0 offen offset:3072// 00000000390C: E05C1C00 80867C22
	v_mfma_i32_16x16x32_i8 v[132:135], a[12:13], v[212:213], v[132:135]// 000000003914: D3D70084 0E13A90C
	v_mfma_i32_16x16x32_i8 v[132:135], a[14:15], v[214:215], v[132:135]// 00000000391C: D3D70084 0E13AD0E
	buffer_load_dword v29, s[20:23], 0 offen lds               // 000000003924: E0511000 8005001D
	s_add_u32 m0, 0x400, s50                                   // 00000000392C: 807C32FF 00000400
	v_mfma_i32_16x16x32_i8 v[136:139], a[16:17], v[184:185], v[136:139]// 000000003934: D3D70088 0E237110
	v_mfma_i32_16x16x32_i8 v[136:139], a[18:19], v[186:187], v[136:139]// 00000000393C: D3D70088 0E237512
	buffer_load_dwordx4 a[128:131], v35, s[24:27], 0 offen     // 000000003944: E05C1000 80868023
	v_mfma_i32_16x16x32_i8 v[136:139], a[20:21], v[188:189], v[136:139]// 00000000394C: D3D70088 0E237914
	v_mfma_i32_16x16x32_i8 v[136:139], a[22:23], v[190:191], v[136:139]// 000000003954: D3D70088 0E237D16
	buffer_load_dword v30, s[20:23], 0 offen lds               // 00000000395C: E0511000 8005001E
	s_add_u32 m0, 0x500, s50                                   // 000000003964: 807C32FF 00000500
	v_mfma_i32_16x16x32_i8 v[136:139], a[24:25], v[192:193], v[136:139]// 00000000396C: D3D70088 0E238118
	v_mfma_i32_16x16x32_i8 v[136:139], a[26:27], v[194:195], v[136:139]// 000000003974: D3D70088 0E23851A
	buffer_load_dwordx4 a[132:135], v35, s[24:27], 0 offen offset:1024// 00000000397C: E05C1400 80868423
	v_mfma_i32_16x16x32_i8 v[136:139], a[28:29], v[196:197], v[136:139]// 000000003984: D3D70088 0E23891C
	v_mfma_i32_16x16x32_i8 v[136:139], a[30:31], v[198:199], v[136:139]// 00000000398C: D3D70088 0E238D1E
	buffer_load_dword v31, s[20:23], 0 offen lds               // 000000003994: E0511000 8005001F
	s_add_u32 m0, 0x600, s50                                   // 00000000399C: 807C32FF 00000600
	v_mfma_i32_16x16x32_i8 v[140:143], a[16:17], v[200:201], v[140:143]// 0000000039A4: D3D7008C 0E339110
	v_mfma_i32_16x16x32_i8 v[140:143], a[18:19], v[202:203], v[140:143]// 0000000039AC: D3D7008C 0E339512
	buffer_load_dwordx4 a[136:139], v35, s[24:27], 0 offen offset:2048// 0000000039B4: E05C1800 80868823
	v_mfma_i32_16x16x32_i8 v[140:143], a[20:21], v[204:205], v[140:143]// 0000000039BC: D3D7008C 0E339914
	v_mfma_i32_16x16x32_i8 v[140:143], a[22:23], v[206:207], v[140:143]// 0000000039C4: D3D7008C 0E339D16
	buffer_load_dword v32, s[20:23], 0 offen lds               // 0000000039CC: E0511000 80050020
	s_add_u32 m0, 0x700, s50                                   // 0000000039D4: 807C32FF 00000700
	v_mfma_i32_16x16x32_i8 v[140:143], a[24:25], v[208:209], v[140:143]// 0000000039DC: D3D7008C 0E33A118
	v_mfma_i32_16x16x32_i8 v[140:143], a[26:27], v[210:211], v[140:143]// 0000000039E4: D3D7008C 0E33A51A
	buffer_load_dwordx4 a[140:143], v35, s[24:27], 0 offen offset:3072// 0000000039EC: E05C1C00 80868C23
	v_mfma_i32_16x16x32_i8 v[140:143], a[28:29], v[212:213], v[140:143]// 0000000039F4: D3D7008C 0E33A91C
	v_mfma_i32_16x16x32_i8 v[140:143], a[30:31], v[214:215], v[140:143]// 0000000039FC: D3D7008C 0E33AD1E
	buffer_load_dword v33, s[20:23], 0 offen lds               // 000000003A04: E0511000 80050021
	s_add_u32 m0, 0, s51                                       // 000000003A0C: 807C3380
	s_waitcnt vmcnt(32)                                        // 000000003A10: BF8C8F70
	v_mfma_i32_16x16x32_i8 v[144:147], a[32:33], v[184:185], v[144:147]// 000000003A14: D3D70090 0E437120
	v_mfma_i32_16x16x32_i8 v[144:147], a[34:35], v[186:187], v[144:147]// 000000003A1C: D3D70090 0E437522
	buffer_load_dwordx4 a[144:147], v36, s[24:27], 0 offen     // 000000003A24: E05C1000 80869024
	v_mfma_i32_16x16x32_i8 v[144:147], a[36:37], v[188:189], v[144:147]// 000000003A2C: D3D70090 0E437924
	v_mfma_i32_16x16x32_i8 v[144:147], a[38:39], v[190:191], v[144:147]// 000000003A34: D3D70090 0E437D26
	ds_read_b128 v[216:219], v2 offset:8320                    // 000000003A3C: D9FE2080 D8000002
	v_mfma_i32_16x16x32_i8 v[144:147], a[40:41], v[192:193], v[144:147]// 000000003A44: D3D70090 0E438128
	v_mfma_i32_16x16x32_i8 v[144:147], a[42:43], v[194:195], v[144:147]// 000000003A4C: D3D70090 0E43852A
	buffer_load_dwordx4 a[148:151], v36, s[24:27], 0 offen offset:1024// 000000003A54: E05C1400 80869424
	v_mfma_i32_16x16x32_i8 v[144:147], a[44:45], v[196:197], v[144:147]// 000000003A5C: D3D70090 0E43892C
	v_mfma_i32_16x16x32_i8 v[144:147], a[46:47], v[198:199], v[144:147]// 000000003A64: D3D70090 0E438D2E
	ds_read_b128 v[220:223], v2 offset:8384                    // 000000003A6C: D9FE20C0 DC000002
	v_mfma_i32_16x16x32_i8 v[148:151], a[32:33], v[200:201], v[148:151]// 000000003A74: D3D70094 0E539120
	v_mfma_i32_16x16x32_i8 v[148:151], a[34:35], v[202:203], v[148:151]// 000000003A7C: D3D70094 0E539522
	buffer_load_dwordx4 a[152:155], v36, s[24:27], 0 offen offset:2048// 000000003A84: E05C1800 80869824
	v_mfma_i32_16x16x32_i8 v[148:151], a[36:37], v[204:205], v[148:151]// 000000003A8C: D3D70094 0E539924
	v_mfma_i32_16x16x32_i8 v[148:151], a[38:39], v[206:207], v[148:151]// 000000003A94: D3D70094 0E539D26
	ds_read_b128 v[224:227], v2 offset:8448                    // 000000003A9C: D9FE2100 E0000002
	v_mfma_i32_16x16x32_i8 v[148:151], a[40:41], v[208:209], v[148:151]// 000000003AA4: D3D70094 0E53A128
	v_mfma_i32_16x16x32_i8 v[148:151], a[42:43], v[210:211], v[148:151]// 000000003AAC: D3D70094 0E53A52A
	buffer_load_dwordx4 a[156:159], v36, s[24:27], 0 offen offset:3072// 000000003AB4: E05C1C00 80869C24
	v_mfma_i32_16x16x32_i8 v[148:151], a[44:45], v[212:213], v[148:151]// 000000003ABC: D3D70094 0E53A92C
	v_mfma_i32_16x16x32_i8 v[148:151], a[46:47], v[214:215], v[148:151]// 000000003AC4: D3D70094 0E53AD2E
	ds_read_b128 v[228:231], v2 offset:8512                    // 000000003ACC: D9FE2140 E4000002
	s_waitcnt vmcnt(32)                                        // 000000003AD4: BF8C8F70
	v_mfma_i32_16x16x32_i8 v[152:155], a[48:49], v[184:185], v[152:155]// 000000003AD8: D3D70098 0E637130
	v_mfma_i32_16x16x32_i8 v[152:155], a[50:51], v[186:187], v[152:155]// 000000003AE0: D3D70098 0E637532
	buffer_load_dwordx4 a[160:163], v37, s[24:27], 0 offen     // 000000003AE8: E05C1000 8086A025
	v_mfma_i32_16x16x32_i8 v[152:155], a[52:53], v[188:189], v[152:155]// 000000003AF0: D3D70098 0E637934
	v_mfma_i32_16x16x32_i8 v[152:155], a[54:55], v[190:191], v[152:155]// 000000003AF8: D3D70098 0E637D36
	ds_read_b128 v[232:235], v2 offset:9344                    // 000000003B00: D9FE2480 E8000002
	v_mfma_i32_16x16x32_i8 v[152:155], a[56:57], v[192:193], v[152:155]// 000000003B08: D3D70098 0E638138
	v_mfma_i32_16x16x32_i8 v[152:155], a[58:59], v[194:195], v[152:155]// 000000003B10: D3D70098 0E63853A
	buffer_load_dwordx4 a[164:167], v37, s[24:27], 0 offen offset:1024// 000000003B18: E05C1400 8086A425
	v_mfma_i32_16x16x32_i8 v[152:155], a[60:61], v[196:197], v[152:155]// 000000003B20: D3D70098 0E63893C
	v_mfma_i32_16x16x32_i8 v[152:155], a[62:63], v[198:199], v[152:155]// 000000003B28: D3D70098 0E638D3E
	ds_read_b128 v[236:239], v2 offset:9408                    // 000000003B30: D9FE24C0 EC000002
	v_mfma_i32_16x16x32_i8 v[156:159], a[48:49], v[200:201], v[156:159]// 000000003B38: D3D7009C 0E739130
	v_mfma_i32_16x16x32_i8 v[156:159], a[50:51], v[202:203], v[156:159]// 000000003B40: D3D7009C 0E739532
	buffer_load_dwordx4 a[168:171], v37, s[24:27], 0 offen offset:2048// 000000003B48: E05C1800 8086A825
	v_mfma_i32_16x16x32_i8 v[156:159], a[52:53], v[204:205], v[156:159]// 000000003B50: D3D7009C 0E739934
	v_mfma_i32_16x16x32_i8 v[156:159], a[54:55], v[206:207], v[156:159]// 000000003B58: D3D7009C 0E739D36
	ds_read_b128 v[240:243], v2 offset:9472                    // 000000003B60: D9FE2500 F0000002
	v_mfma_i32_16x16x32_i8 v[156:159], a[56:57], v[208:209], v[156:159]// 000000003B68: D3D7009C 0E73A138
	v_mfma_i32_16x16x32_i8 v[156:159], a[58:59], v[210:211], v[156:159]// 000000003B70: D3D7009C 0E73A53A
	buffer_load_dwordx4 a[172:175], v37, s[24:27], 0 offen offset:3072// 000000003B78: E05C1C00 8086AC25
	v_mfma_i32_16x16x32_i8 v[156:159], a[60:61], v[212:213], v[156:159]// 000000003B80: D3D7009C 0E73A93C
	v_mfma_i32_16x16x32_i8 v[156:159], a[62:63], v[214:215], v[156:159]// 000000003B88: D3D7009C 0E73AD3E
	ds_read_b128 v[244:247], v2 offset:9536                    // 000000003B90: D9FE2540 F4000002
	s_waitcnt vmcnt(32)                                        // 000000003B98: BF8C8F70
	v_mfma_i32_16x16x32_i8 v[160:163], a[64:65], v[184:185], v[160:163]// 000000003B9C: D3D700A0 0E837140
	v_mfma_i32_16x16x32_i8 v[160:163], a[66:67], v[186:187], v[160:163]// 000000003BA4: D3D700A0 0E837542
	buffer_load_dwordx4 a[176:179], v38, s[24:27], 0 offen     // 000000003BAC: E05C1000 8086B026
	v_mfma_i32_16x16x32_i8 v[160:163], a[68:69], v[188:189], v[160:163]// 000000003BB4: D3D700A0 0E837944
	v_mfma_i32_16x16x32_i8 v[160:163], a[70:71], v[190:191], v[160:163]// 000000003BBC: D3D700A0 0E837D46
	v_mfma_i32_16x16x32_i8 v[160:163], a[72:73], v[192:193], v[160:163]// 000000003BC4: D3D700A0 0E838148
	v_mfma_i32_16x16x32_i8 v[160:163], a[74:75], v[194:195], v[160:163]// 000000003BCC: D3D700A0 0E83854A
	buffer_load_dwordx4 a[180:183], v38, s[24:27], 0 offen offset:1024// 000000003BD4: E05C1400 8086B426
	v_mfma_i32_16x16x32_i8 v[160:163], a[76:77], v[196:197], v[160:163]// 000000003BDC: D3D700A0 0E83894C
	v_mfma_i32_16x16x32_i8 v[160:163], a[78:79], v[198:199], v[160:163]// 000000003BE4: D3D700A0 0E838D4E
	v_mfma_i32_16x16x32_i8 v[164:167], a[64:65], v[200:201], v[164:167]// 000000003BEC: D3D700A4 0E939140
	v_mfma_i32_16x16x32_i8 v[164:167], a[66:67], v[202:203], v[164:167]// 000000003BF4: D3D700A4 0E939542
	buffer_load_dwordx4 a[184:187], v38, s[24:27], 0 offen offset:2048// 000000003BFC: E05C1800 8086B826
	v_mfma_i32_16x16x32_i8 v[164:167], a[68:69], v[204:205], v[164:167]// 000000003C04: D3D700A4 0E939944
	v_mfma_i32_16x16x32_i8 v[164:167], a[70:71], v[206:207], v[164:167]// 000000003C0C: D3D700A4 0E939D46
	v_mfma_i32_16x16x32_i8 v[164:167], a[72:73], v[208:209], v[164:167]// 000000003C14: D3D700A4 0E93A148
	v_mfma_i32_16x16x32_i8 v[164:167], a[74:75], v[210:211], v[164:167]// 000000003C1C: D3D700A4 0E93A54A
	buffer_load_dwordx4 a[188:191], v38, s[24:27], 0 offen offset:3072// 000000003C24: E05C1C00 8086BC26
	v_mfma_i32_16x16x32_i8 v[164:167], a[76:77], v[212:213], v[164:167]// 000000003C2C: D3D700A4 0E93A94C
	v_mfma_i32_16x16x32_i8 v[164:167], a[78:79], v[214:215], v[164:167]// 000000003C34: D3D700A4 0E93AD4E
	s_waitcnt vmcnt(32)                                        // 000000003C3C: BF8C8F70
	v_mfma_i32_16x16x32_i8 v[168:171], a[80:81], v[184:185], v[168:171]// 000000003C40: D3D700A8 0EA37150
	v_mfma_i32_16x16x32_i8 v[168:171], a[82:83], v[186:187], v[168:171]// 000000003C48: D3D700A8 0EA37552
	buffer_load_dwordx4 a[192:195], v39, s[24:27], 0 offen     // 000000003C50: E05C1000 8086C027
	v_mfma_i32_16x16x32_i8 v[168:171], a[84:85], v[188:189], v[168:171]// 000000003C58: D3D700A8 0EA37954
	v_mfma_i32_16x16x32_i8 v[168:171], a[86:87], v[190:191], v[168:171]// 000000003C60: D3D700A8 0EA37D56
	v_mfma_i32_16x16x32_i8 v[168:171], a[88:89], v[192:193], v[168:171]// 000000003C68: D3D700A8 0EA38158
	v_mfma_i32_16x16x32_i8 v[168:171], a[90:91], v[194:195], v[168:171]// 000000003C70: D3D700A8 0EA3855A
	buffer_load_dwordx4 a[196:199], v39, s[24:27], 0 offen offset:1024// 000000003C78: E05C1400 8086C427
	v_mfma_i32_16x16x32_i8 v[168:171], a[92:93], v[196:197], v[168:171]// 000000003C80: D3D700A8 0EA3895C
	v_mfma_i32_16x16x32_i8 v[168:171], a[94:95], v[198:199], v[168:171]// 000000003C88: D3D700A8 0EA38D5E
	v_mfma_i32_16x16x32_i8 v[172:175], a[80:81], v[200:201], v[172:175]// 000000003C90: D3D700AC 0EB39150
	v_mfma_i32_16x16x32_i8 v[172:175], a[82:83], v[202:203], v[172:175]// 000000003C98: D3D700AC 0EB39552
	buffer_load_dwordx4 a[200:203], v39, s[24:27], 0 offen offset:2048// 000000003CA0: E05C1800 8086C827
	v_mfma_i32_16x16x32_i8 v[172:175], a[84:85], v[204:205], v[172:175]// 000000003CA8: D3D700AC 0EB39954
	v_mfma_i32_16x16x32_i8 v[172:175], a[86:87], v[206:207], v[172:175]// 000000003CB0: D3D700AC 0EB39D56
	v_mfma_i32_16x16x32_i8 v[172:175], a[88:89], v[208:209], v[172:175]// 000000003CB8: D3D700AC 0EB3A158
	v_mfma_i32_16x16x32_i8 v[172:175], a[90:91], v[210:211], v[172:175]// 000000003CC0: D3D700AC 0EB3A55A
	buffer_load_dwordx4 a[204:207], v39, s[24:27], 0 offen offset:3072// 000000003CC8: E05C1C00 8086CC27
	v_mfma_i32_16x16x32_i8 v[172:175], a[92:93], v[212:213], v[172:175]// 000000003CD0: D3D700AC 0EB3A95C
	v_mfma_i32_16x16x32_i8 v[172:175], a[94:95], v[214:215], v[172:175]// 000000003CD8: D3D700AC 0EB3AD5E
	s_waitcnt vmcnt(32)                                        // 000000003CE0: BF8C8F70
	v_mfma_i32_16x16x32_i8 v[176:179], a[96:97], v[184:185], v[176:179]// 000000003CE4: D3D700B0 0EC37160
	v_mfma_i32_16x16x32_i8 v[176:179], a[98:99], v[186:187], v[176:179]// 000000003CEC: D3D700B0 0EC37562
	buffer_load_dwordx4 a[208:211], v40, s[24:27], 0 offen     // 000000003CF4: E05C1000 8086D028
	v_mfma_i32_16x16x32_i8 v[176:179], a[100:101], v[188:189], v[176:179]// 000000003CFC: D3D700B0 0EC37964
	v_mfma_i32_16x16x32_i8 v[176:179], a[102:103], v[190:191], v[176:179]// 000000003D04: D3D700B0 0EC37D66
	v_mfma_i32_16x16x32_i8 v[176:179], a[104:105], v[192:193], v[176:179]// 000000003D0C: D3D700B0 0EC38168
	v_mfma_i32_16x16x32_i8 v[176:179], a[106:107], v[194:195], v[176:179]// 000000003D14: D3D700B0 0EC3856A
	buffer_load_dwordx4 a[212:215], v40, s[24:27], 0 offen offset:1024// 000000003D1C: E05C1400 8086D428
	v_mfma_i32_16x16x32_i8 v[176:179], a[108:109], v[196:197], v[176:179]// 000000003D24: D3D700B0 0EC3896C
	v_mfma_i32_16x16x32_i8 v[176:179], a[110:111], v[198:199], v[176:179]// 000000003D2C: D3D700B0 0EC38D6E
	v_mfma_i32_16x16x32_i8 v[180:183], a[96:97], v[200:201], v[180:183]// 000000003D34: D3D700B4 0ED39160
	v_mfma_i32_16x16x32_i8 v[180:183], a[98:99], v[202:203], v[180:183]// 000000003D3C: D3D700B4 0ED39562
	buffer_load_dwordx4 a[216:219], v40, s[24:27], 0 offen offset:2048// 000000003D44: E05C1800 8086D828
	v_mfma_i32_16x16x32_i8 v[180:183], a[100:101], v[204:205], v[180:183]// 000000003D4C: D3D700B4 0ED39964
	v_mfma_i32_16x16x32_i8 v[180:183], a[102:103], v[206:207], v[180:183]// 000000003D54: D3D700B4 0ED39D66
	v_mfma_i32_16x16x32_i8 v[180:183], a[104:105], v[208:209], v[180:183]// 000000003D5C: D3D700B4 0ED3A168
	v_mfma_i32_16x16x32_i8 v[180:183], a[106:107], v[210:211], v[180:183]// 000000003D64: D3D700B4 0ED3A56A
	buffer_load_dwordx4 a[220:223], v40, s[24:27], 0 offen offset:3072// 000000003D6C: E05C1C00 8086DC28
	v_mfma_i32_16x16x32_i8 v[180:183], a[108:109], v[212:213], v[180:183]// 000000003D74: D3D700B4 0ED3A96C
	v_mfma_i32_16x16x32_i8 v[180:183], a[110:111], v[214:215], v[180:183]// 000000003D7C: D3D700B4 0ED3AD6E
	s_add_u32 s60, 0x300, s80                                  // 000000003D84: 803C50FF 00000300
	s_cmp_lt_u32 s60, s81                                      // 000000003D8C: BF0A513C
	s_cselect_b32 s57, s57, 0                                  // 000000003D90: 85398039
	s_add_u32 s60, 0x200, s80                                  // 000000003D94: 803C50FF 00000200
	s_cmp_lt_u32 s60, s81                                      // 000000003D9C: BF0A513C
	s_cselect_b32 s58, s58, 0                                  // 000000003DA0: 853A803A
	s_add_u32 s20, s57, s20                                    // 000000003DA4: 80141439
	s_addc_u32 s21, 0, s21                                     // 000000003DA8: 82151580
	s_add_u32 s24, s58, s24                                    // 000000003DAC: 8018183A
	s_addc_u32 s25, 0, s25                                     // 000000003DB0: 82191980
	s_addk_i32 s80, 0x100                                      // 000000003DB4: B7500100
	s_cmp_lt_i32 s80, s81                                      // 000000003DB8: BF045150
	s_cbranch_scc0 label_054E                                  // 000000003DBC: BF84015E
	s_waitcnt vmcnt(20) lgkmcnt(0)                             // 000000003DC0: BF8C4074
	s_barrier                                                  // 000000003DC4: BF8A0000
	v_mfma_i32_16x16x32_i8 v[128:131], a[112:113], v[216:217], v[128:131]// 000000003DC8: D3D70080 0E03B170
	v_mfma_i32_16x16x32_i8 v[128:131], a[114:115], v[218:219], v[128:131]// 000000003DD0: D3D70080 0E03B572
	buffer_load_dwordx4 a[0:3], v34, s[24:27], 0 offen         // 000000003DD8: E05C1000 80860022
	v_mfma_i32_16x16x32_i8 v[128:131], a[116:117], v[220:221], v[128:131]// 000000003DE0: D3D70080 0E03B974
	v_mfma_i32_16x16x32_i8 v[128:131], a[118:119], v[222:223], v[128:131]// 000000003DE8: D3D70080 0E03BD76
	buffer_load_dword v26, s[20:23], 0 offen lds               // 000000003DF0: E0511000 8005001A
	s_add_u32 m0, 0x100, s51                                   // 000000003DF8: 807C33FF 00000100
	v_mfma_i32_16x16x32_i8 v[128:131], a[120:121], v[224:225], v[128:131]// 000000003E00: D3D70080 0E03C178
	v_mfma_i32_16x16x32_i8 v[128:131], a[122:123], v[226:227], v[128:131]// 000000003E08: D3D70080 0E03C57A
	buffer_load_dwordx4 a[4:7], v34, s[24:27], 0 offen offset:1024// 000000003E10: E05C1400 80860422
	v_mfma_i32_16x16x32_i8 v[128:131], a[124:125], v[228:229], v[128:131]// 000000003E18: D3D70080 0E03C97C
	v_mfma_i32_16x16x32_i8 v[128:131], a[126:127], v[230:231], v[128:131]// 000000003E20: D3D70080 0E03CD7E
	buffer_load_dword v27, s[20:23], 0 offen lds               // 000000003E28: E0511000 8005001B
	s_add_u32 m0, 0x200, s51                                   // 000000003E30: 807C33FF 00000200
	v_mfma_i32_16x16x32_i8 v[132:135], a[112:113], v[232:233], v[132:135]// 000000003E38: D3D70084 0E13D170
	v_mfma_i32_16x16x32_i8 v[132:135], a[114:115], v[234:235], v[132:135]// 000000003E40: D3D70084 0E13D572
	buffer_load_dwordx4 a[8:11], v34, s[24:27], 0 offen offset:2048// 000000003E48: E05C1800 80860822
	v_mfma_i32_16x16x32_i8 v[132:135], a[116:117], v[236:237], v[132:135]// 000000003E50: D3D70084 0E13D974
	v_mfma_i32_16x16x32_i8 v[132:135], a[118:119], v[238:239], v[132:135]// 000000003E58: D3D70084 0E13DD76
	buffer_load_dword v28, s[20:23], 0 offen lds               // 000000003E60: E0511000 8005001C
	s_add_u32 m0, 0x300, s51                                   // 000000003E68: 807C33FF 00000300
	v_mfma_i32_16x16x32_i8 v[132:135], a[120:121], v[240:241], v[132:135]// 000000003E70: D3D70084 0E13E178
	v_mfma_i32_16x16x32_i8 v[132:135], a[122:123], v[242:243], v[132:135]// 000000003E78: D3D70084 0E13E57A
	buffer_load_dwordx4 a[12:15], v34, s[24:27], 0 offen offset:3072// 000000003E80: E05C1C00 80860C22
	v_mfma_i32_16x16x32_i8 v[132:135], a[124:125], v[244:245], v[132:135]// 000000003E88: D3D70084 0E13E97C
	v_mfma_i32_16x16x32_i8 v[132:135], a[126:127], v[246:247], v[132:135]// 000000003E90: D3D70084 0E13ED7E
	buffer_load_dword v29, s[20:23], 0 offen lds               // 000000003E98: E0511000 8005001D
	s_add_u32 m0, 0x400, s51                                   // 000000003EA0: 807C33FF 00000400
	v_mfma_i32_16x16x32_i8 v[136:139], a[128:129], v[216:217], v[136:139]// 000000003EA8: D3D70088 0E23B180
	v_mfma_i32_16x16x32_i8 v[136:139], a[130:131], v[218:219], v[136:139]// 000000003EB0: D3D70088 0E23B582
	buffer_load_dwordx4 a[16:19], v35, s[24:27], 0 offen       // 000000003EB8: E05C1000 80861023
	v_mfma_i32_16x16x32_i8 v[136:139], a[132:133], v[220:221], v[136:139]// 000000003EC0: D3D70088 0E23B984
	v_mfma_i32_16x16x32_i8 v[136:139], a[134:135], v[222:223], v[136:139]// 000000003EC8: D3D70088 0E23BD86
	buffer_load_dword v30, s[20:23], 0 offen lds               // 000000003ED0: E0511000 8005001E
	s_add_u32 m0, 0x500, s51                                   // 000000003ED8: 807C33FF 00000500
	v_mfma_i32_16x16x32_i8 v[136:139], a[136:137], v[224:225], v[136:139]// 000000003EE0: D3D70088 0E23C188
	v_mfma_i32_16x16x32_i8 v[136:139], a[138:139], v[226:227], v[136:139]// 000000003EE8: D3D70088 0E23C58A
	buffer_load_dwordx4 a[20:23], v35, s[24:27], 0 offen offset:1024// 000000003EF0: E05C1400 80861423
	v_mfma_i32_16x16x32_i8 v[136:139], a[140:141], v[228:229], v[136:139]// 000000003EF8: D3D70088 0E23C98C
	v_mfma_i32_16x16x32_i8 v[136:139], a[142:143], v[230:231], v[136:139]// 000000003F00: D3D70088 0E23CD8E
	buffer_load_dword v31, s[20:23], 0 offen lds               // 000000003F08: E0511000 8005001F
	s_add_u32 m0, 0x600, s51                                   // 000000003F10: 807C33FF 00000600
	v_mfma_i32_16x16x32_i8 v[140:143], a[128:129], v[232:233], v[140:143]// 000000003F18: D3D7008C 0E33D180
	v_mfma_i32_16x16x32_i8 v[140:143], a[130:131], v[234:235], v[140:143]// 000000003F20: D3D7008C 0E33D582
	buffer_load_dwordx4 a[24:27], v35, s[24:27], 0 offen offset:2048// 000000003F28: E05C1800 80861823
	v_mfma_i32_16x16x32_i8 v[140:143], a[132:133], v[236:237], v[140:143]// 000000003F30: D3D7008C 0E33D984
	v_mfma_i32_16x16x32_i8 v[140:143], a[134:135], v[238:239], v[140:143]// 000000003F38: D3D7008C 0E33DD86
	buffer_load_dword v32, s[20:23], 0 offen lds               // 000000003F40: E0511000 80050020
	s_add_u32 m0, 0x700, s51                                   // 000000003F48: 807C33FF 00000700
	v_mfma_i32_16x16x32_i8 v[140:143], a[136:137], v[240:241], v[140:143]// 000000003F50: D3D7008C 0E33E188
	v_mfma_i32_16x16x32_i8 v[140:143], a[138:139], v[242:243], v[140:143]// 000000003F58: D3D7008C 0E33E58A
	buffer_load_dwordx4 a[28:31], v35, s[24:27], 0 offen offset:3072// 000000003F60: E05C1C00 80861C23
	v_mfma_i32_16x16x32_i8 v[140:143], a[140:141], v[244:245], v[140:143]// 000000003F68: D3D7008C 0E33E98C
	v_mfma_i32_16x16x32_i8 v[140:143], a[142:143], v[246:247], v[140:143]// 000000003F70: D3D7008C 0E33ED8E
	buffer_load_dword v33, s[20:23], 0 offen lds               // 000000003F78: E0511000 80050021
	s_add_u32 m0, 0, s50                                       // 000000003F80: 807C3280
	s_waitcnt vmcnt(32)                                        // 000000003F84: BF8C8F70
	v_mfma_i32_16x16x32_i8 v[144:147], a[144:145], v[216:217], v[144:147]// 000000003F88: D3D70090 0E43B190
	v_mfma_i32_16x16x32_i8 v[144:147], a[146:147], v[218:219], v[144:147]// 000000003F90: D3D70090 0E43B592
	buffer_load_dwordx4 a[32:35], v36, s[24:27], 0 offen       // 000000003F98: E05C1000 80862024
	v_mfma_i32_16x16x32_i8 v[144:147], a[148:149], v[220:221], v[144:147]// 000000003FA0: D3D70090 0E43B994
	v_mfma_i32_16x16x32_i8 v[144:147], a[150:151], v[222:223], v[144:147]// 000000003FA8: D3D70090 0E43BD96
	ds_read_b128 v[184:187], v2                                // 000000003FB0: D9FE0000 B8000002
	v_mfma_i32_16x16x32_i8 v[144:147], a[152:153], v[224:225], v[144:147]// 000000003FB8: D3D70090 0E43C198
	v_mfma_i32_16x16x32_i8 v[144:147], a[154:155], v[226:227], v[144:147]// 000000003FC0: D3D70090 0E43C59A
	buffer_load_dwordx4 a[36:39], v36, s[24:27], 0 offen offset:1024// 000000003FC8: E05C1400 80862424
	v_mfma_i32_16x16x32_i8 v[144:147], a[156:157], v[228:229], v[144:147]// 000000003FD0: D3D70090 0E43C99C
	v_mfma_i32_16x16x32_i8 v[144:147], a[158:159], v[230:231], v[144:147]// 000000003FD8: D3D70090 0E43CD9E
	ds_read_b128 v[188:191], v2 offset:64                      // 000000003FE0: D9FE0040 BC000002
	v_mfma_i32_16x16x32_i8 v[148:151], a[144:145], v[232:233], v[148:151]// 000000003FE8: D3D70094 0E53D190
	v_mfma_i32_16x16x32_i8 v[148:151], a[146:147], v[234:235], v[148:151]// 000000003FF0: D3D70094 0E53D592
	buffer_load_dwordx4 a[40:43], v36, s[24:27], 0 offen offset:2048// 000000003FF8: E05C1800 80862824
	v_mfma_i32_16x16x32_i8 v[148:151], a[148:149], v[236:237], v[148:151]// 000000004000: D3D70094 0E53D994
	v_mfma_i32_16x16x32_i8 v[148:151], a[150:151], v[238:239], v[148:151]// 000000004008: D3D70094 0E53DD96
	ds_read_b128 v[192:195], v2 offset:128                     // 000000004010: D9FE0080 C0000002
	v_mfma_i32_16x16x32_i8 v[148:151], a[152:153], v[240:241], v[148:151]// 000000004018: D3D70094 0E53E198
	v_mfma_i32_16x16x32_i8 v[148:151], a[154:155], v[242:243], v[148:151]// 000000004020: D3D70094 0E53E59A
	buffer_load_dwordx4 a[44:47], v36, s[24:27], 0 offen offset:3072// 000000004028: E05C1C00 80862C24
	v_mfma_i32_16x16x32_i8 v[148:151], a[156:157], v[244:245], v[148:151]// 000000004030: D3D70094 0E53E99C
	v_mfma_i32_16x16x32_i8 v[148:151], a[158:159], v[246:247], v[148:151]// 000000004038: D3D70094 0E53ED9E
	ds_read_b128 v[196:199], v2 offset:192                     // 000000004040: D9FE00C0 C4000002
	s_waitcnt vmcnt(32)                                        // 000000004048: BF8C8F70
	v_mfma_i32_16x16x32_i8 v[152:155], a[160:161], v[216:217], v[152:155]// 00000000404C: D3D70098 0E63B1A0
	v_mfma_i32_16x16x32_i8 v[152:155], a[162:163], v[218:219], v[152:155]// 000000004054: D3D70098 0E63B5A2
	buffer_load_dwordx4 a[48:51], v37, s[24:27], 0 offen       // 00000000405C: E05C1000 80863025
	v_mfma_i32_16x16x32_i8 v[152:155], a[164:165], v[220:221], v[152:155]// 000000004064: D3D70098 0E63B9A4
	v_mfma_i32_16x16x32_i8 v[152:155], a[166:167], v[222:223], v[152:155]// 00000000406C: D3D70098 0E63BDA6
	ds_read_b128 v[200:203], v2 offset:1024                    // 000000004074: D9FE0400 C8000002
	v_mfma_i32_16x16x32_i8 v[152:155], a[168:169], v[224:225], v[152:155]// 00000000407C: D3D70098 0E63C1A8
	v_mfma_i32_16x16x32_i8 v[152:155], a[170:171], v[226:227], v[152:155]// 000000004084: D3D70098 0E63C5AA
	buffer_load_dwordx4 a[52:55], v37, s[24:27], 0 offen offset:1024// 00000000408C: E05C1400 80863425
	v_mfma_i32_16x16x32_i8 v[152:155], a[172:173], v[228:229], v[152:155]// 000000004094: D3D70098 0E63C9AC
	v_mfma_i32_16x16x32_i8 v[152:155], a[174:175], v[230:231], v[152:155]// 00000000409C: D3D70098 0E63CDAE
	ds_read_b128 v[204:207], v2 offset:1088                    // 0000000040A4: D9FE0440 CC000002
	v_mfma_i32_16x16x32_i8 v[156:159], a[160:161], v[232:233], v[156:159]// 0000000040AC: D3D7009C 0E73D1A0
	v_mfma_i32_16x16x32_i8 v[156:159], a[162:163], v[234:235], v[156:159]// 0000000040B4: D3D7009C 0E73D5A2
	buffer_load_dwordx4 a[56:59], v37, s[24:27], 0 offen offset:2048// 0000000040BC: E05C1800 80863825
	v_mfma_i32_16x16x32_i8 v[156:159], a[164:165], v[236:237], v[156:159]// 0000000040C4: D3D7009C 0E73D9A4
	v_mfma_i32_16x16x32_i8 v[156:159], a[166:167], v[238:239], v[156:159]// 0000000040CC: D3D7009C 0E73DDA6
	ds_read_b128 v[208:211], v2 offset:1152                    // 0000000040D4: D9FE0480 D0000002
	v_mfma_i32_16x16x32_i8 v[156:159], a[168:169], v[240:241], v[156:159]// 0000000040DC: D3D7009C 0E73E1A8
	v_mfma_i32_16x16x32_i8 v[156:159], a[170:171], v[242:243], v[156:159]// 0000000040E4: D3D7009C 0E73E5AA
	buffer_load_dwordx4 a[60:63], v37, s[24:27], 0 offen offset:3072// 0000000040EC: E05C1C00 80863C25
	v_mfma_i32_16x16x32_i8 v[156:159], a[172:173], v[244:245], v[156:159]// 0000000040F4: D3D7009C 0E73E9AC
	v_mfma_i32_16x16x32_i8 v[156:159], a[174:175], v[246:247], v[156:159]// 0000000040FC: D3D7009C 0E73EDAE
	ds_read_b128 v[212:215], v2 offset:1216                    // 000000004104: D9FE04C0 D4000002
	s_waitcnt vmcnt(32)                                        // 00000000410C: BF8C8F70
	v_mfma_i32_16x16x32_i8 v[160:163], a[176:177], v[216:217], v[160:163]// 000000004110: D3D700A0 0E83B1B0
	v_mfma_i32_16x16x32_i8 v[160:163], a[178:179], v[218:219], v[160:163]// 000000004118: D3D700A0 0E83B5B2
	buffer_load_dwordx4 a[64:67], v38, s[24:27], 0 offen       // 000000004120: E05C1000 80864026
	v_mfma_i32_16x16x32_i8 v[160:163], a[180:181], v[220:221], v[160:163]// 000000004128: D3D700A0 0E83B9B4
	v_mfma_i32_16x16x32_i8 v[160:163], a[182:183], v[222:223], v[160:163]// 000000004130: D3D700A0 0E83BDB6
	v_mfma_i32_16x16x32_i8 v[160:163], a[184:185], v[224:225], v[160:163]// 000000004138: D3D700A0 0E83C1B8
	v_mfma_i32_16x16x32_i8 v[160:163], a[186:187], v[226:227], v[160:163]// 000000004140: D3D700A0 0E83C5BA
	buffer_load_dwordx4 a[68:71], v38, s[24:27], 0 offen offset:1024// 000000004148: E05C1400 80864426
	v_mfma_i32_16x16x32_i8 v[160:163], a[188:189], v[228:229], v[160:163]// 000000004150: D3D700A0 0E83C9BC
	v_mfma_i32_16x16x32_i8 v[160:163], a[190:191], v[230:231], v[160:163]// 000000004158: D3D700A0 0E83CDBE
	v_mfma_i32_16x16x32_i8 v[164:167], a[176:177], v[232:233], v[164:167]// 000000004160: D3D700A4 0E93D1B0
	v_mfma_i32_16x16x32_i8 v[164:167], a[178:179], v[234:235], v[164:167]// 000000004168: D3D700A4 0E93D5B2
	buffer_load_dwordx4 a[72:75], v38, s[24:27], 0 offen offset:2048// 000000004170: E05C1800 80864826
	v_mfma_i32_16x16x32_i8 v[164:167], a[180:181], v[236:237], v[164:167]// 000000004178: D3D700A4 0E93D9B4
	v_mfma_i32_16x16x32_i8 v[164:167], a[182:183], v[238:239], v[164:167]// 000000004180: D3D700A4 0E93DDB6
	v_mfma_i32_16x16x32_i8 v[164:167], a[184:185], v[240:241], v[164:167]// 000000004188: D3D700A4 0E93E1B8
	v_mfma_i32_16x16x32_i8 v[164:167], a[186:187], v[242:243], v[164:167]// 000000004190: D3D700A4 0E93E5BA
	buffer_load_dwordx4 a[76:79], v38, s[24:27], 0 offen offset:3072// 000000004198: E05C1C00 80864C26
	v_mfma_i32_16x16x32_i8 v[164:167], a[188:189], v[244:245], v[164:167]// 0000000041A0: D3D700A4 0E93E9BC
	v_mfma_i32_16x16x32_i8 v[164:167], a[190:191], v[246:247], v[164:167]// 0000000041A8: D3D700A4 0E93EDBE
	s_waitcnt vmcnt(32)                                        // 0000000041B0: BF8C8F70
	v_mfma_i32_16x16x32_i8 v[168:171], a[192:193], v[216:217], v[168:171]// 0000000041B4: D3D700A8 0EA3B1C0
	v_mfma_i32_16x16x32_i8 v[168:171], a[194:195], v[218:219], v[168:171]// 0000000041BC: D3D700A8 0EA3B5C2
	buffer_load_dwordx4 a[80:83], v39, s[24:27], 0 offen       // 0000000041C4: E05C1000 80865027
	v_mfma_i32_16x16x32_i8 v[168:171], a[196:197], v[220:221], v[168:171]// 0000000041CC: D3D700A8 0EA3B9C4
	v_mfma_i32_16x16x32_i8 v[168:171], a[198:199], v[222:223], v[168:171]// 0000000041D4: D3D700A8 0EA3BDC6
	v_mfma_i32_16x16x32_i8 v[168:171], a[200:201], v[224:225], v[168:171]// 0000000041DC: D3D700A8 0EA3C1C8
	v_mfma_i32_16x16x32_i8 v[168:171], a[202:203], v[226:227], v[168:171]// 0000000041E4: D3D700A8 0EA3C5CA
	buffer_load_dwordx4 a[84:87], v39, s[24:27], 0 offen offset:1024// 0000000041EC: E05C1400 80865427
	v_mfma_i32_16x16x32_i8 v[168:171], a[204:205], v[228:229], v[168:171]// 0000000041F4: D3D700A8 0EA3C9CC
	v_mfma_i32_16x16x32_i8 v[168:171], a[206:207], v[230:231], v[168:171]// 0000000041FC: D3D700A8 0EA3CDCE
	v_mfma_i32_16x16x32_i8 v[172:175], a[192:193], v[232:233], v[172:175]// 000000004204: D3D700AC 0EB3D1C0
	v_mfma_i32_16x16x32_i8 v[172:175], a[194:195], v[234:235], v[172:175]// 00000000420C: D3D700AC 0EB3D5C2
	buffer_load_dwordx4 a[88:91], v39, s[24:27], 0 offen offset:2048// 000000004214: E05C1800 80865827
	v_mfma_i32_16x16x32_i8 v[172:175], a[196:197], v[236:237], v[172:175]// 00000000421C: D3D700AC 0EB3D9C4
	v_mfma_i32_16x16x32_i8 v[172:175], a[198:199], v[238:239], v[172:175]// 000000004224: D3D700AC 0EB3DDC6
	v_mfma_i32_16x16x32_i8 v[172:175], a[200:201], v[240:241], v[172:175]// 00000000422C: D3D700AC 0EB3E1C8
	v_mfma_i32_16x16x32_i8 v[172:175], a[202:203], v[242:243], v[172:175]// 000000004234: D3D700AC 0EB3E5CA
	buffer_load_dwordx4 a[92:95], v39, s[24:27], 0 offen offset:3072// 00000000423C: E05C1C00 80865C27
	v_mfma_i32_16x16x32_i8 v[172:175], a[204:205], v[244:245], v[172:175]// 000000004244: D3D700AC 0EB3E9CC
	v_mfma_i32_16x16x32_i8 v[172:175], a[206:207], v[246:247], v[172:175]// 00000000424C: D3D700AC 0EB3EDCE
	s_waitcnt vmcnt(32)                                        // 000000004254: BF8C8F70
	v_mfma_i32_16x16x32_i8 v[176:179], a[208:209], v[216:217], v[176:179]// 000000004258: D3D700B0 0EC3B1D0
	v_mfma_i32_16x16x32_i8 v[176:179], a[210:211], v[218:219], v[176:179]// 000000004260: D3D700B0 0EC3B5D2
	buffer_load_dwordx4 a[96:99], v40, s[24:27], 0 offen       // 000000004268: E05C1000 80866028
	v_mfma_i32_16x16x32_i8 v[176:179], a[212:213], v[220:221], v[176:179]// 000000004270: D3D700B0 0EC3B9D4
	v_mfma_i32_16x16x32_i8 v[176:179], a[214:215], v[222:223], v[176:179]// 000000004278: D3D700B0 0EC3BDD6
	v_mfma_i32_16x16x32_i8 v[176:179], a[216:217], v[224:225], v[176:179]// 000000004280: D3D700B0 0EC3C1D8
	v_mfma_i32_16x16x32_i8 v[176:179], a[218:219], v[226:227], v[176:179]// 000000004288: D3D700B0 0EC3C5DA
	buffer_load_dwordx4 a[100:103], v40, s[24:27], 0 offen offset:1024// 000000004290: E05C1400 80866428
	v_mfma_i32_16x16x32_i8 v[176:179], a[220:221], v[228:229], v[176:179]// 000000004298: D3D700B0 0EC3C9DC
	v_mfma_i32_16x16x32_i8 v[176:179], a[222:223], v[230:231], v[176:179]// 0000000042A0: D3D700B0 0EC3CDDE
	v_mfma_i32_16x16x32_i8 v[180:183], a[208:209], v[232:233], v[180:183]// 0000000042A8: D3D700B4 0ED3D1D0
	v_mfma_i32_16x16x32_i8 v[180:183], a[210:211], v[234:235], v[180:183]// 0000000042B0: D3D700B4 0ED3D5D2
	buffer_load_dwordx4 a[104:107], v40, s[24:27], 0 offen offset:2048// 0000000042B8: E05C1800 80866828
	v_mfma_i32_16x16x32_i8 v[180:183], a[212:213], v[236:237], v[180:183]// 0000000042C0: D3D700B4 0ED3D9D4
	v_mfma_i32_16x16x32_i8 v[180:183], a[214:215], v[238:239], v[180:183]// 0000000042C8: D3D700B4 0ED3DDD6
	v_mfma_i32_16x16x32_i8 v[180:183], a[216:217], v[240:241], v[180:183]// 0000000042D0: D3D700B4 0ED3E1D8
	v_mfma_i32_16x16x32_i8 v[180:183], a[218:219], v[242:243], v[180:183]// 0000000042D8: D3D700B4 0ED3E5DA
	buffer_load_dwordx4 a[108:111], v40, s[24:27], 0 offen offset:3072// 0000000042E0: E05C1C00 80866C28
	v_mfma_i32_16x16x32_i8 v[180:183], a[220:221], v[244:245], v[180:183]// 0000000042E8: D3D700B4 0ED3E9DC
	v_mfma_i32_16x16x32_i8 v[180:183], a[222:223], v[246:247], v[180:183]// 0000000042F0: D3D700B4 0ED3EDDE
	s_add_u32 s60, 0x300, s80                                  // 0000000042F8: 803C50FF 00000300
	s_cmp_lt_u32 s60, s81                                      // 000000004300: BF0A513C
	s_cselect_b32 s57, s57, 0                                  // 000000004304: 85398039
	s_add_u32 s60, 0x200, s80                                  // 000000004308: 803C50FF 00000200
	s_cmp_lt_u32 s60, s81                                      // 000000004310: BF0A513C
	s_cselect_b32 s58, s58, 0                                  // 000000004314: 853A803A
	s_add_u32 s20, s57, s20                                    // 000000004318: 80141439
	s_addc_u32 s21, 0, s21                                     // 00000000431C: 82151580
	s_add_u32 s24, s58, s24                                    // 000000004320: 8018183A
	s_addc_u32 s25, 0, s25                                     // 000000004324: 82191980
	s_addk_i32 s80, 0x100                                      // 000000004328: B7500100
	s_cmp_lt_i32 s80, s81                                      // 00000000432C: BF045150
	s_cbranch_scc0 label_054E                                  // 000000004330: BF840001
	s_branch label_0293                                        // 000000004334: BF82FD45

0000000000004338 <label_054E>:
	s_mov_b32 s36, -1                                          // 000000004338: BEA400C1
	s_mov_b32 s37, -1                                          // 00000000433C: BEA500C1
	s_mov_b64 s[60:61], 0                                      // 000000004340: BEBC0180
	s_cmp_lt_u32 s82, s66                                      // 000000004344: BF0A4252
	s_cselect_b64 s[20:21], s[36:37], s[60:61]                 // 000000004348: 85943C24
	s_cmp_lt_u32 s83, s66                                      // 00000000434C: BF0A4253
	s_cselect_b64 s[22:23], s[36:37], s[60:61]                 // 000000004350: 85963C24
	s_cmp_lt_u32 s84, s66                                      // 000000004354: BF0A4254
	s_cselect_b64 s[24:25], s[36:37], s[60:61]                 // 000000004358: 85983C24
	s_cmp_lt_u32 s85, s66                                      // 00000000435C: BF0A4255
	s_cselect_b64 s[26:27], s[36:37], s[60:61]                 // 000000004360: 859A3C24
	s_cmp_lt_u32 s86, s66                                      // 000000004364: BF0A4256
	s_cselect_b64 s[28:29], s[36:37], s[60:61]                 // 000000004368: 859C3C24
	s_cmp_lt_u32 s87, s66                                      // 00000000436C: BF0A4257
	s_cselect_b64 s[30:31], s[36:37], s[60:61]                 // 000000004370: 859E3C24
	s_cmp_lt_u32 s88, s66                                      // 000000004374: BF0A4258
	s_cselect_b64 s[32:33], s[36:37], s[60:61]                 // 000000004378: 85A03C24
	s_cmp_lt_u32 s89, s66                                      // 00000000437C: BF0A4259
	s_cselect_b64 s[34:35], s[36:37], s[60:61]                 // 000000004380: 85A23C24
	v_cvt_f32_i32_e32 v128, v128                               // 000000004384: 7F000B80
	v_cvt_f32_i32_e32 v129, v129                               // 000000004388: 7F020B81
	v_cvt_f32_i32_e32 v130, v130                               // 00000000438C: 7F040B82
	v_cvt_f32_i32_e32 v131, v131                               // 000000004390: 7F060B83
	v_mul_f32_e32 v128, v14, v128                              // 000000004394: 0B01010E
	v_mul_f32_e32 v129, v14, v129                              // 000000004398: 0B03030E
	v_mul_f32_e32 v130, v14, v130                              // 00000000439C: 0B05050E
	v_mul_f32_e32 v131, v14, v131                              // 0000000043A0: 0B07070E
	v_mul_f32_dpp v128, v16, v128 row_newbcast:0 row_mask:0xf bank_mask:0xf// 0000000043A4: 0B0100FA FF015010
	v_mul_f32_dpp v129, v16, v129 row_newbcast:1 row_mask:0xf bank_mask:0xf// 0000000043AC: 0B0302FA FF015110
	v_mul_f32_dpp v130, v16, v130 row_newbcast:2 row_mask:0xf bank_mask:0xf// 0000000043B4: 0B0504FA FF015210
	v_mul_f32_dpp v131, v16, v131 row_newbcast:3 row_mask:0xf bank_mask:0xf// 0000000043BC: 0B0706FA FF015310
	v_cvt_f32_i32_e32 v132, v132                               // 0000000043C4: 7F080B84
	v_cvt_f32_i32_e32 v133, v133                               // 0000000043C8: 7F0A0B85
	v_cvt_f32_i32_e32 v134, v134                               // 0000000043CC: 7F0C0B86
	v_cvt_f32_i32_e32 v135, v135                               // 0000000043D0: 7F0E0B87
	v_mul_f32_e32 v132, v15, v132                              // 0000000043D4: 0B09090F
	v_mul_f32_e32 v133, v15, v133                              // 0000000043D8: 0B0B0B0F
	v_mul_f32_e32 v134, v15, v134                              // 0000000043DC: 0B0D0D0F
	v_mul_f32_e32 v135, v15, v135                              // 0000000043E0: 0B0F0F0F
	v_mul_f32_dpp v132, v16, v132 row_newbcast:0 row_mask:0xf bank_mask:0xf// 0000000043E4: 0B0908FA FF015010
	v_mul_f32_dpp v133, v16, v133 row_newbcast:1 row_mask:0xf bank_mask:0xf// 0000000043EC: 0B0B0AFA FF015110
	v_mul_f32_dpp v134, v16, v134 row_newbcast:2 row_mask:0xf bank_mask:0xf// 0000000043F4: 0B0D0CFA FF015210
	v_mul_f32_dpp v135, v16, v135 row_newbcast:3 row_mask:0xf bank_mask:0xf// 0000000043FC: 0B0F0EFA FF015310
	v_cvt_f32_i32_e32 v136, v136                               // 000000004404: 7F100B88
	v_cvt_f32_i32_e32 v137, v137                               // 000000004408: 7F120B89
	v_cvt_f32_i32_e32 v138, v138                               // 00000000440C: 7F140B8A
	v_cvt_f32_i32_e32 v139, v139                               // 000000004410: 7F160B8B
	v_mul_f32_e32 v136, v14, v136                              // 000000004414: 0B11110E
	v_mul_f32_e32 v137, v14, v137                              // 000000004418: 0B13130E
	v_mul_f32_e32 v138, v14, v138                              // 00000000441C: 0B15150E
	v_mul_f32_e32 v139, v14, v139                              // 000000004420: 0B17170E
	v_mul_f32_dpp v136, v16, v136 row_newbcast:4 row_mask:0xf bank_mask:0xf// 000000004424: 0B1110FA FF015410
	v_mul_f32_dpp v137, v16, v137 row_newbcast:5 row_mask:0xf bank_mask:0xf// 00000000442C: 0B1312FA FF015510
	v_mul_f32_dpp v138, v16, v138 row_newbcast:6 row_mask:0xf bank_mask:0xf// 000000004434: 0B1514FA FF015610
	v_mul_f32_dpp v139, v16, v139 row_newbcast:7 row_mask:0xf bank_mask:0xf// 00000000443C: 0B1716FA FF015710
	v_cvt_f32_i32_e32 v140, v140                               // 000000004444: 7F180B8C
	v_cvt_f32_i32_e32 v141, v141                               // 000000004448: 7F1A0B8D
	v_cvt_f32_i32_e32 v142, v142                               // 00000000444C: 7F1C0B8E
	v_cvt_f32_i32_e32 v143, v143                               // 000000004450: 7F1E0B8F
	v_mul_f32_e32 v140, v15, v140                              // 000000004454: 0B19190F
	v_mul_f32_e32 v141, v15, v141                              // 000000004458: 0B1B1B0F
	v_mul_f32_e32 v142, v15, v142                              // 00000000445C: 0B1D1D0F
	v_mul_f32_e32 v143, v15, v143                              // 000000004460: 0B1F1F0F
	v_mul_f32_dpp v140, v16, v140 row_newbcast:4 row_mask:0xf bank_mask:0xf// 000000004464: 0B1918FA FF015410
	v_mul_f32_dpp v141, v16, v141 row_newbcast:5 row_mask:0xf bank_mask:0xf// 00000000446C: 0B1B1AFA FF015510
	v_mul_f32_dpp v142, v16, v142 row_newbcast:6 row_mask:0xf bank_mask:0xf// 000000004474: 0B1D1CFA FF015610
	v_mul_f32_dpp v143, v16, v143 row_newbcast:7 row_mask:0xf bank_mask:0xf// 00000000447C: 0B1F1EFA FF015710
	v_cvt_f32_i32_e32 v144, v144                               // 000000004484: 7F200B90
	v_cvt_f32_i32_e32 v145, v145                               // 000000004488: 7F220B91
	v_cvt_f32_i32_e32 v146, v146                               // 00000000448C: 7F240B92
	v_cvt_f32_i32_e32 v147, v147                               // 000000004490: 7F260B93
	v_mul_f32_e32 v144, v14, v144                              // 000000004494: 0B21210E
	v_mul_f32_e32 v145, v14, v145                              // 000000004498: 0B23230E
	v_mul_f32_e32 v146, v14, v146                              // 00000000449C: 0B25250E
	v_mul_f32_e32 v147, v14, v147                              // 0000000044A0: 0B27270E
	v_mul_f32_dpp v144, v16, v144 row_newbcast:8 row_mask:0xf bank_mask:0xf// 0000000044A4: 0B2120FA FF015810
	v_mul_f32_dpp v145, v16, v145 row_newbcast:9 row_mask:0xf bank_mask:0xf// 0000000044AC: 0B2322FA FF015910
	v_mul_f32_dpp v146, v16, v146 row_newbcast:10 row_mask:0xf bank_mask:0xf// 0000000044B4: 0B2524FA FF015A10
	v_mul_f32_dpp v147, v16, v147 row_newbcast:11 row_mask:0xf bank_mask:0xf// 0000000044BC: 0B2726FA FF015B10
	v_cvt_f32_i32_e32 v148, v148                               // 0000000044C4: 7F280B94
	v_cvt_f32_i32_e32 v149, v149                               // 0000000044C8: 7F2A0B95
	v_cvt_f32_i32_e32 v150, v150                               // 0000000044CC: 7F2C0B96
	v_cvt_f32_i32_e32 v151, v151                               // 0000000044D0: 7F2E0B97
	v_mul_f32_e32 v148, v15, v148                              // 0000000044D4: 0B29290F
	v_mul_f32_e32 v149, v15, v149                              // 0000000044D8: 0B2B2B0F
	v_mul_f32_e32 v150, v15, v150                              // 0000000044DC: 0B2D2D0F
	v_mul_f32_e32 v151, v15, v151                              // 0000000044E0: 0B2F2F0F
	v_mul_f32_dpp v148, v16, v148 row_newbcast:8 row_mask:0xf bank_mask:0xf// 0000000044E4: 0B2928FA FF015810
	v_mul_f32_dpp v149, v16, v149 row_newbcast:9 row_mask:0xf bank_mask:0xf// 0000000044EC: 0B2B2AFA FF015910
	v_mul_f32_dpp v150, v16, v150 row_newbcast:10 row_mask:0xf bank_mask:0xf// 0000000044F4: 0B2D2CFA FF015A10
	v_mul_f32_dpp v151, v16, v151 row_newbcast:11 row_mask:0xf bank_mask:0xf// 0000000044FC: 0B2F2EFA FF015B10
	v_cvt_f32_i32_e32 v152, v152                               // 000000004504: 7F300B98
	v_cvt_f32_i32_e32 v153, v153                               // 000000004508: 7F320B99
	v_cvt_f32_i32_e32 v154, v154                               // 00000000450C: 7F340B9A
	v_cvt_f32_i32_e32 v155, v155                               // 000000004510: 7F360B9B
	v_mul_f32_e32 v152, v14, v152                              // 000000004514: 0B31310E
	v_mul_f32_e32 v153, v14, v153                              // 000000004518: 0B33330E
	v_mul_f32_e32 v154, v14, v154                              // 00000000451C: 0B35350E
	v_mul_f32_e32 v155, v14, v155                              // 000000004520: 0B37370E
	v_mul_f32_dpp v152, v16, v152 row_newbcast:12 row_mask:0xf bank_mask:0xf// 000000004524: 0B3130FA FF015C10
	v_mul_f32_dpp v153, v16, v153 row_newbcast:13 row_mask:0xf bank_mask:0xf// 00000000452C: 0B3332FA FF015D10
	v_mul_f32_dpp v154, v16, v154 row_newbcast:14 row_mask:0xf bank_mask:0xf// 000000004534: 0B3534FA FF015E10
	v_mul_f32_dpp v155, v16, v155 row_newbcast:15 row_mask:0xf bank_mask:0xf// 00000000453C: 0B3736FA FF015F10
	v_cvt_f32_i32_e32 v156, v156                               // 000000004544: 7F380B9C
	v_cvt_f32_i32_e32 v157, v157                               // 000000004548: 7F3A0B9D
	v_cvt_f32_i32_e32 v158, v158                               // 00000000454C: 7F3C0B9E
	v_cvt_f32_i32_e32 v159, v159                               // 000000004550: 7F3E0B9F
	v_mul_f32_e32 v156, v15, v156                              // 000000004554: 0B39390F
	v_mul_f32_e32 v157, v15, v157                              // 000000004558: 0B3B3B0F
	v_mul_f32_e32 v158, v15, v158                              // 00000000455C: 0B3D3D0F
	v_mul_f32_e32 v159, v15, v159                              // 000000004560: 0B3F3F0F
	v_mul_f32_dpp v156, v16, v156 row_newbcast:12 row_mask:0xf bank_mask:0xf// 000000004564: 0B3938FA FF015C10
	v_mul_f32_dpp v157, v16, v157 row_newbcast:13 row_mask:0xf bank_mask:0xf// 00000000456C: 0B3B3AFA FF015D10
	v_mul_f32_dpp v158, v16, v158 row_newbcast:14 row_mask:0xf bank_mask:0xf// 000000004574: 0B3D3CFA FF015E10
	v_mul_f32_dpp v159, v16, v159 row_newbcast:15 row_mask:0xf bank_mask:0xf// 00000000457C: 0B3F3EFA FF015F10
	v_cvt_f32_i32_e32 v160, v160                               // 000000004584: 7F400BA0
	v_cvt_f32_i32_e32 v161, v161                               // 000000004588: 7F420BA1
	v_cvt_f32_i32_e32 v162, v162                               // 00000000458C: 7F440BA2
	v_cvt_f32_i32_e32 v163, v163                               // 000000004590: 7F460BA3
	v_mul_f32_e32 v160, v14, v160                              // 000000004594: 0B41410E
	v_mul_f32_e32 v161, v14, v161                              // 000000004598: 0B43430E
	v_mul_f32_e32 v162, v14, v162                              // 00000000459C: 0B45450E
	v_mul_f32_e32 v163, v14, v163                              // 0000000045A0: 0B47470E
	v_mul_f32_dpp v160, v17, v160 row_newbcast:0 row_mask:0xf bank_mask:0xf// 0000000045A4: 0B4140FA FF015011
	v_mul_f32_dpp v161, v17, v161 row_newbcast:1 row_mask:0xf bank_mask:0xf// 0000000045AC: 0B4342FA FF015111
	v_mul_f32_dpp v162, v17, v162 row_newbcast:2 row_mask:0xf bank_mask:0xf// 0000000045B4: 0B4544FA FF015211
	v_mul_f32_dpp v163, v17, v163 row_newbcast:3 row_mask:0xf bank_mask:0xf// 0000000045BC: 0B4746FA FF015311
	v_cvt_f32_i32_e32 v164, v164                               // 0000000045C4: 7F480BA4
	v_cvt_f32_i32_e32 v165, v165                               // 0000000045C8: 7F4A0BA5
	v_cvt_f32_i32_e32 v166, v166                               // 0000000045CC: 7F4C0BA6
	v_cvt_f32_i32_e32 v167, v167                               // 0000000045D0: 7F4E0BA7
	v_mul_f32_e32 v164, v15, v164                              // 0000000045D4: 0B49490F
	v_mul_f32_e32 v165, v15, v165                              // 0000000045D8: 0B4B4B0F
	v_mul_f32_e32 v166, v15, v166                              // 0000000045DC: 0B4D4D0F
	v_mul_f32_e32 v167, v15, v167                              // 0000000045E0: 0B4F4F0F
	v_mul_f32_dpp v164, v17, v164 row_newbcast:0 row_mask:0xf bank_mask:0xf// 0000000045E4: 0B4948FA FF015011
	v_mul_f32_dpp v165, v17, v165 row_newbcast:1 row_mask:0xf bank_mask:0xf// 0000000045EC: 0B4B4AFA FF015111
	v_mul_f32_dpp v166, v17, v166 row_newbcast:2 row_mask:0xf bank_mask:0xf// 0000000045F4: 0B4D4CFA FF015211
	v_mul_f32_dpp v167, v17, v167 row_newbcast:3 row_mask:0xf bank_mask:0xf// 0000000045FC: 0B4F4EFA FF015311
	v_cvt_f32_i32_e32 v168, v168                               // 000000004604: 7F500BA8
	v_cvt_f32_i32_e32 v169, v169                               // 000000004608: 7F520BA9
	v_cvt_f32_i32_e32 v170, v170                               // 00000000460C: 7F540BAA
	v_cvt_f32_i32_e32 v171, v171                               // 000000004610: 7F560BAB
	v_mul_f32_e32 v168, v14, v168                              // 000000004614: 0B51510E
	v_mul_f32_e32 v169, v14, v169                              // 000000004618: 0B53530E
	v_mul_f32_e32 v170, v14, v170                              // 00000000461C: 0B55550E
	v_mul_f32_e32 v171, v14, v171                              // 000000004620: 0B57570E
	v_mul_f32_dpp v168, v17, v168 row_newbcast:4 row_mask:0xf bank_mask:0xf// 000000004624: 0B5150FA FF015411
	v_mul_f32_dpp v169, v17, v169 row_newbcast:5 row_mask:0xf bank_mask:0xf// 00000000462C: 0B5352FA FF015511
	v_mul_f32_dpp v170, v17, v170 row_newbcast:6 row_mask:0xf bank_mask:0xf// 000000004634: 0B5554FA FF015611
	v_mul_f32_dpp v171, v17, v171 row_newbcast:7 row_mask:0xf bank_mask:0xf// 00000000463C: 0B5756FA FF015711
	v_cvt_f32_i32_e32 v172, v172                               // 000000004644: 7F580BAC
	v_cvt_f32_i32_e32 v173, v173                               // 000000004648: 7F5A0BAD
	v_cvt_f32_i32_e32 v174, v174                               // 00000000464C: 7F5C0BAE
	v_cvt_f32_i32_e32 v175, v175                               // 000000004650: 7F5E0BAF
	v_mul_f32_e32 v172, v15, v172                              // 000000004654: 0B59590F
	v_mul_f32_e32 v173, v15, v173                              // 000000004658: 0B5B5B0F
	v_mul_f32_e32 v174, v15, v174                              // 00000000465C: 0B5D5D0F
	v_mul_f32_e32 v175, v15, v175                              // 000000004660: 0B5F5F0F
	v_mul_f32_dpp v172, v17, v172 row_newbcast:4 row_mask:0xf bank_mask:0xf// 000000004664: 0B5958FA FF015411
	v_mul_f32_dpp v173, v17, v173 row_newbcast:5 row_mask:0xf bank_mask:0xf// 00000000466C: 0B5B5AFA FF015511
	v_mul_f32_dpp v174, v17, v174 row_newbcast:6 row_mask:0xf bank_mask:0xf// 000000004674: 0B5D5CFA FF015611
	v_mul_f32_dpp v175, v17, v175 row_newbcast:7 row_mask:0xf bank_mask:0xf// 00000000467C: 0B5F5EFA FF015711
	v_cvt_f32_i32_e32 v176, v176                               // 000000004684: 7F600BB0
	v_cvt_f32_i32_e32 v177, v177                               // 000000004688: 7F620BB1
	v_cvt_f32_i32_e32 v178, v178                               // 00000000468C: 7F640BB2
	v_cvt_f32_i32_e32 v179, v179                               // 000000004690: 7F660BB3
	v_mul_f32_e32 v176, v14, v176                              // 000000004694: 0B61610E
	v_mul_f32_e32 v177, v14, v177                              // 000000004698: 0B63630E
	v_mul_f32_e32 v178, v14, v178                              // 00000000469C: 0B65650E
	v_mul_f32_e32 v179, v14, v179                              // 0000000046A0: 0B67670E
	v_mul_f32_dpp v176, v17, v176 row_newbcast:8 row_mask:0xf bank_mask:0xf// 0000000046A4: 0B6160FA FF015811
	v_mul_f32_dpp v177, v17, v177 row_newbcast:9 row_mask:0xf bank_mask:0xf// 0000000046AC: 0B6362FA FF015911
	v_mul_f32_dpp v178, v17, v178 row_newbcast:10 row_mask:0xf bank_mask:0xf// 0000000046B4: 0B6564FA FF015A11
	v_mul_f32_dpp v179, v17, v179 row_newbcast:11 row_mask:0xf bank_mask:0xf// 0000000046BC: 0B6766FA FF015B11
	v_cvt_f32_i32_e32 v180, v180                               // 0000000046C4: 7F680BB4
	v_cvt_f32_i32_e32 v181, v181                               // 0000000046C8: 7F6A0BB5
	v_cvt_f32_i32_e32 v182, v182                               // 0000000046CC: 7F6C0BB6
	v_cvt_f32_i32_e32 v183, v183                               // 0000000046D0: 7F6E0BB7
	v_mul_f32_e32 v180, v15, v180                              // 0000000046D4: 0B69690F
	v_mul_f32_e32 v181, v15, v181                              // 0000000046D8: 0B6B6B0F
	v_mul_f32_e32 v182, v15, v182                              // 0000000046DC: 0B6D6D0F
	v_mul_f32_e32 v183, v15, v183                              // 0000000046E0: 0B6F6F0F
	v_mul_f32_dpp v180, v17, v180 row_newbcast:8 row_mask:0xf bank_mask:0xf// 0000000046E4: 0B6968FA FF015811
	v_mul_f32_dpp v181, v17, v181 row_newbcast:9 row_mask:0xf bank_mask:0xf// 0000000046EC: 0B6B6AFA FF015911
	v_mul_f32_dpp v182, v17, v182 row_newbcast:10 row_mask:0xf bank_mask:0xf// 0000000046F4: 0B6D6CFA FF015A11
	v_mul_f32_dpp v183, v17, v183 row_newbcast:11 row_mask:0xf bank_mask:0xf// 0000000046FC: 0B6F6EFA FF015B11
	s_waitcnt vmcnt(24)                                        // 000000004704: BF8C4F78
	buffer_load_dwordx4 a[0:3], v41, s[12:15], 0 offen         // 000000004708: E05C1000 80830029
	v_mul_f32_e64 v50, -v128, s6                               // 000000004710: D1050032 20000D80
	v_mul_f32_e64 v51, -v129, s6                               // 000000004718: D1050033 20000D81
	v_mul_f32_e64 v52, -v130, s6                               // 000000004720: D1050034 20000D82
	v_mul_f32_e64 v53, -v131, s6                               // 000000004728: D1050035 20000D83
	v_exp_f32_e32 v50, v50                                     // 000000004730: 7E644132
	v_exp_f32_e32 v51, v51                                     // 000000004734: 7E664133
	v_exp_f32_e32 v52, v52                                     // 000000004738: 7E684134
	v_exp_f32_e32 v53, v53                                     // 00000000473C: 7E6A4135
	buffer_load_dwordx4 a[4:7], v42, s[12:15], 0 offen         // 000000004740: E05C1000 8083042A
	v_add_f32_e64 v50, v50, 1.0                                // 000000004748: D1010032 0001E532
	v_add_f32_e64 v51, v51, 1.0                                // 000000004750: D1010033 0001E533
	v_add_f32_e64 v52, v52, 1.0                                // 000000004758: D1010034 0001E534
	v_add_f32_e64 v53, v53, 1.0                                // 000000004760: D1010035 0001E535
	v_rcp_f32_e32 v50, v50                                     // 000000004768: 7E644532
	v_rcp_f32_e32 v51, v51                                     // 00000000476C: 7E664533
	v_rcp_f32_e32 v52, v52                                     // 000000004770: 7E684534
	v_rcp_f32_e32 v53, v53                                     // 000000004774: 7E6A4535
	v_mul_f32_e32 v128, v128, v50                              // 000000004778: 0B006580
	v_mul_f32_e32 v129, v129, v51                              // 00000000477C: 0B026781
	v_mul_f32_e32 v130, v130, v52                              // 000000004780: 0B046982
	v_mul_f32_e32 v131, v131, v53                              // 000000004784: 0B066B83
	buffer_load_dwordx4 a[8:11], v43, s[12:15], 0 offen        // 000000004788: E05C1000 8083082B
	v_mul_f32_e64 v50, -v132, s6                               // 000000004790: D1050032 20000D84
	v_mul_f32_e64 v51, -v133, s6                               // 000000004798: D1050033 20000D85
	v_mul_f32_e64 v52, -v134, s6                               // 0000000047A0: D1050034 20000D86
	v_mul_f32_e64 v53, -v135, s6                               // 0000000047A8: D1050035 20000D87
	v_exp_f32_e32 v50, v50                                     // 0000000047B0: 7E644132
	v_exp_f32_e32 v51, v51                                     // 0000000047B4: 7E664133
	v_exp_f32_e32 v52, v52                                     // 0000000047B8: 7E684134
	v_exp_f32_e32 v53, v53                                     // 0000000047BC: 7E6A4135
	buffer_load_dwordx4 a[12:15], v44, s[12:15], 0 offen       // 0000000047C0: E05C1000 80830C2C
	s_add_u32 s12, s78, s12                                    // 0000000047C8: 800C0C4E
	s_addc_u32 s13, 0, s13                                     // 0000000047CC: 820D0D80
	v_add_f32_e64 v50, v50, 1.0                                // 0000000047D0: D1010032 0001E532
	v_add_f32_e64 v51, v51, 1.0                                // 0000000047D8: D1010033 0001E533
	v_add_f32_e64 v52, v52, 1.0                                // 0000000047E0: D1010034 0001E534
	v_add_f32_e64 v53, v53, 1.0                                // 0000000047E8: D1010035 0001E535
	v_rcp_f32_e32 v50, v50                                     // 0000000047F0: 7E644532
	v_rcp_f32_e32 v51, v51                                     // 0000000047F4: 7E664533
	v_rcp_f32_e32 v52, v52                                     // 0000000047F8: 7E684534
	v_rcp_f32_e32 v53, v53                                     // 0000000047FC: 7E6A4535
	v_mul_f32_e32 v132, v132, v50                              // 000000004800: 0B086584
	v_mul_f32_e32 v133, v133, v51                              // 000000004804: 0B0A6785
	v_mul_f32_e32 v134, v134, v52                              // 000000004808: 0B0C6986
	v_mul_f32_e32 v135, v135, v53                              // 00000000480C: 0B0E6B87
	s_waitcnt vmcnt(24)                                        // 000000004810: BF8C4F78
	buffer_load_dwordx4 a[16:19], v41, s[12:15], 0 offen       // 000000004814: E05C1000 80831029
	v_mul_f32_e64 v50, -v136, s6                               // 00000000481C: D1050032 20000D88
	v_mul_f32_e64 v51, -v137, s6                               // 000000004824: D1050033 20000D89
	v_mul_f32_e64 v52, -v138, s6                               // 00000000482C: D1050034 20000D8A
	v_mul_f32_e64 v53, -v139, s6                               // 000000004834: D1050035 20000D8B
	v_exp_f32_e32 v50, v50                                     // 00000000483C: 7E644132
	v_exp_f32_e32 v51, v51                                     // 000000004840: 7E664133
	v_exp_f32_e32 v52, v52                                     // 000000004844: 7E684134
	v_exp_f32_e32 v53, v53                                     // 000000004848: 7E6A4135
	buffer_load_dwordx4 a[20:23], v42, s[12:15], 0 offen       // 00000000484C: E05C1000 8083142A
	v_add_f32_e64 v50, v50, 1.0                                // 000000004854: D1010032 0001E532
	v_add_f32_e64 v51, v51, 1.0                                // 00000000485C: D1010033 0001E533
	v_add_f32_e64 v52, v52, 1.0                                // 000000004864: D1010034 0001E534
	v_add_f32_e64 v53, v53, 1.0                                // 00000000486C: D1010035 0001E535
	v_rcp_f32_e32 v50, v50                                     // 000000004874: 7E644532
	v_rcp_f32_e32 v51, v51                                     // 000000004878: 7E664533
	v_rcp_f32_e32 v52, v52                                     // 00000000487C: 7E684534
	v_rcp_f32_e32 v53, v53                                     // 000000004880: 7E6A4535
	v_mul_f32_e32 v136, v136, v50                              // 000000004884: 0B106588
	v_mul_f32_e32 v137, v137, v51                              // 000000004888: 0B126789
	v_mul_f32_e32 v138, v138, v52                              // 00000000488C: 0B14698A
	v_mul_f32_e32 v139, v139, v53                              // 000000004890: 0B166B8B
	buffer_load_dwordx4 a[24:27], v43, s[12:15], 0 offen       // 000000004894: E05C1000 8083182B
	v_mul_f32_e64 v50, -v140, s6                               // 00000000489C: D1050032 20000D8C
	v_mul_f32_e64 v51, -v141, s6                               // 0000000048A4: D1050033 20000D8D
	v_mul_f32_e64 v52, -v142, s6                               // 0000000048AC: D1050034 20000D8E
	v_mul_f32_e64 v53, -v143, s6                               // 0000000048B4: D1050035 20000D8F
	v_exp_f32_e32 v50, v50                                     // 0000000048BC: 7E644132
	v_exp_f32_e32 v51, v51                                     // 0000000048C0: 7E664133
	v_exp_f32_e32 v52, v52                                     // 0000000048C4: 7E684134
	v_exp_f32_e32 v53, v53                                     // 0000000048C8: 7E6A4135
	buffer_load_dwordx4 a[28:31], v44, s[12:15], 0 offen       // 0000000048CC: E05C1000 80831C2C
	s_add_u32 s12, s78, s12                                    // 0000000048D4: 800C0C4E
	s_addc_u32 s13, 0, s13                                     // 0000000048D8: 820D0D80
	v_add_f32_e64 v50, v50, 1.0                                // 0000000048DC: D1010032 0001E532
	v_add_f32_e64 v51, v51, 1.0                                // 0000000048E4: D1010033 0001E533
	v_add_f32_e64 v52, v52, 1.0                                // 0000000048EC: D1010034 0001E534
	v_add_f32_e64 v53, v53, 1.0                                // 0000000048F4: D1010035 0001E535
	v_rcp_f32_e32 v50, v50                                     // 0000000048FC: 7E644532
	v_rcp_f32_e32 v51, v51                                     // 000000004900: 7E664533
	v_rcp_f32_e32 v52, v52                                     // 000000004904: 7E684534
	v_rcp_f32_e32 v53, v53                                     // 000000004908: 7E6A4535
	v_mul_f32_e32 v140, v140, v50                              // 00000000490C: 0B18658C
	v_mul_f32_e32 v141, v141, v51                              // 000000004910: 0B1A678D
	v_mul_f32_e32 v142, v142, v52                              // 000000004914: 0B1C698E
	v_mul_f32_e32 v143, v143, v53                              // 000000004918: 0B1E6B8F
	s_waitcnt vmcnt(24)                                        // 00000000491C: BF8C4F78
	buffer_load_dwordx4 a[32:35], v41, s[12:15], 0 offen       // 000000004920: E05C1000 80832029
	v_mul_f32_e64 v50, -v144, s6                               // 000000004928: D1050032 20000D90
	v_mul_f32_e64 v51, -v145, s6                               // 000000004930: D1050033 20000D91
	v_mul_f32_e64 v52, -v146, s6                               // 000000004938: D1050034 20000D92
	v_mul_f32_e64 v53, -v147, s6                               // 000000004940: D1050035 20000D93
	v_exp_f32_e32 v50, v50                                     // 000000004948: 7E644132
	v_exp_f32_e32 v51, v51                                     // 00000000494C: 7E664133
	v_exp_f32_e32 v52, v52                                     // 000000004950: 7E684134
	v_exp_f32_e32 v53, v53                                     // 000000004954: 7E6A4135
	buffer_load_dwordx4 a[36:39], v42, s[12:15], 0 offen       // 000000004958: E05C1000 8083242A
	v_add_f32_e64 v50, v50, 1.0                                // 000000004960: D1010032 0001E532
	v_add_f32_e64 v51, v51, 1.0                                // 000000004968: D1010033 0001E533
	v_add_f32_e64 v52, v52, 1.0                                // 000000004970: D1010034 0001E534
	v_add_f32_e64 v53, v53, 1.0                                // 000000004978: D1010035 0001E535
	v_rcp_f32_e32 v50, v50                                     // 000000004980: 7E644532
	v_rcp_f32_e32 v51, v51                                     // 000000004984: 7E664533
	v_rcp_f32_e32 v52, v52                                     // 000000004988: 7E684534
	v_rcp_f32_e32 v53, v53                                     // 00000000498C: 7E6A4535
	v_mul_f32_e32 v144, v144, v50                              // 000000004990: 0B206590
	v_mul_f32_e32 v145, v145, v51                              // 000000004994: 0B226791
	v_mul_f32_e32 v146, v146, v52                              // 000000004998: 0B246992
	v_mul_f32_e32 v147, v147, v53                              // 00000000499C: 0B266B93
	buffer_load_dwordx4 a[40:43], v43, s[12:15], 0 offen       // 0000000049A0: E05C1000 8083282B
	v_mul_f32_e64 v50, -v148, s6                               // 0000000049A8: D1050032 20000D94
	v_mul_f32_e64 v51, -v149, s6                               // 0000000049B0: D1050033 20000D95
	v_mul_f32_e64 v52, -v150, s6                               // 0000000049B8: D1050034 20000D96
	v_mul_f32_e64 v53, -v151, s6                               // 0000000049C0: D1050035 20000D97
	v_exp_f32_e32 v50, v50                                     // 0000000049C8: 7E644132
	v_exp_f32_e32 v51, v51                                     // 0000000049CC: 7E664133
	v_exp_f32_e32 v52, v52                                     // 0000000049D0: 7E684134
	v_exp_f32_e32 v53, v53                                     // 0000000049D4: 7E6A4135
	buffer_load_dwordx4 a[44:47], v44, s[12:15], 0 offen       // 0000000049D8: E05C1000 80832C2C
	s_add_u32 s12, s78, s12                                    // 0000000049E0: 800C0C4E
	s_addc_u32 s13, 0, s13                                     // 0000000049E4: 820D0D80
	v_add_f32_e64 v50, v50, 1.0                                // 0000000049E8: D1010032 0001E532
	v_add_f32_e64 v51, v51, 1.0                                // 0000000049F0: D1010033 0001E533
	v_add_f32_e64 v52, v52, 1.0                                // 0000000049F8: D1010034 0001E534
	v_add_f32_e64 v53, v53, 1.0                                // 000000004A00: D1010035 0001E535
	v_rcp_f32_e32 v50, v50                                     // 000000004A08: 7E644532
	v_rcp_f32_e32 v51, v51                                     // 000000004A0C: 7E664533
	v_rcp_f32_e32 v52, v52                                     // 000000004A10: 7E684534
	v_rcp_f32_e32 v53, v53                                     // 000000004A14: 7E6A4535
	v_mul_f32_e32 v148, v148, v50                              // 000000004A18: 0B286594
	v_mul_f32_e32 v149, v149, v51                              // 000000004A1C: 0B2A6795
	v_mul_f32_e32 v150, v150, v52                              // 000000004A20: 0B2C6996
	v_mul_f32_e32 v151, v151, v53                              // 000000004A24: 0B2E6B97
	s_waitcnt vmcnt(24)                                        // 000000004A28: BF8C4F78
	buffer_load_dwordx4 a[48:51], v41, s[12:15], 0 offen       // 000000004A2C: E05C1000 80833029
	v_mul_f32_e64 v50, -v152, s6                               // 000000004A34: D1050032 20000D98
	v_mul_f32_e64 v51, -v153, s6                               // 000000004A3C: D1050033 20000D99
	v_mul_f32_e64 v52, -v154, s6                               // 000000004A44: D1050034 20000D9A
	v_mul_f32_e64 v53, -v155, s6                               // 000000004A4C: D1050035 20000D9B
	v_exp_f32_e32 v50, v50                                     // 000000004A54: 7E644132
	v_exp_f32_e32 v51, v51                                     // 000000004A58: 7E664133
	v_exp_f32_e32 v52, v52                                     // 000000004A5C: 7E684134
	v_exp_f32_e32 v53, v53                                     // 000000004A60: 7E6A4135
	buffer_load_dwordx4 a[52:55], v42, s[12:15], 0 offen       // 000000004A64: E05C1000 8083342A
	v_add_f32_e64 v50, v50, 1.0                                // 000000004A6C: D1010032 0001E532
	v_add_f32_e64 v51, v51, 1.0                                // 000000004A74: D1010033 0001E533
	v_add_f32_e64 v52, v52, 1.0                                // 000000004A7C: D1010034 0001E534
	v_add_f32_e64 v53, v53, 1.0                                // 000000004A84: D1010035 0001E535
	v_rcp_f32_e32 v50, v50                                     // 000000004A8C: 7E644532
	v_rcp_f32_e32 v51, v51                                     // 000000004A90: 7E664533
	v_rcp_f32_e32 v52, v52                                     // 000000004A94: 7E684534
	v_rcp_f32_e32 v53, v53                                     // 000000004A98: 7E6A4535
	v_mul_f32_e32 v152, v152, v50                              // 000000004A9C: 0B306598
	v_mul_f32_e32 v153, v153, v51                              // 000000004AA0: 0B326799
	v_mul_f32_e32 v154, v154, v52                              // 000000004AA4: 0B34699A
	v_mul_f32_e32 v155, v155, v53                              // 000000004AA8: 0B366B9B
	buffer_load_dwordx4 a[56:59], v43, s[12:15], 0 offen       // 000000004AAC: E05C1000 8083382B
	v_mul_f32_e64 v50, -v156, s6                               // 000000004AB4: D1050032 20000D9C
	v_mul_f32_e64 v51, -v157, s6                               // 000000004ABC: D1050033 20000D9D
	v_mul_f32_e64 v52, -v158, s6                               // 000000004AC4: D1050034 20000D9E
	v_mul_f32_e64 v53, -v159, s6                               // 000000004ACC: D1050035 20000D9F
	v_exp_f32_e32 v50, v50                                     // 000000004AD4: 7E644132
	v_exp_f32_e32 v51, v51                                     // 000000004AD8: 7E664133
	v_exp_f32_e32 v52, v52                                     // 000000004ADC: 7E684134
	v_exp_f32_e32 v53, v53                                     // 000000004AE0: 7E6A4135
	buffer_load_dwordx4 a[60:63], v44, s[12:15], 0 offen       // 000000004AE4: E05C1000 80833C2C
	s_add_u32 s12, s78, s12                                    // 000000004AEC: 800C0C4E
	s_addc_u32 s13, 0, s13                                     // 000000004AF0: 820D0D80
	v_add_f32_e64 v50, v50, 1.0                                // 000000004AF4: D1010032 0001E532
	v_add_f32_e64 v51, v51, 1.0                                // 000000004AFC: D1010033 0001E533
	v_add_f32_e64 v52, v52, 1.0                                // 000000004B04: D1010034 0001E534
	v_add_f32_e64 v53, v53, 1.0                                // 000000004B0C: D1010035 0001E535
	v_rcp_f32_e32 v50, v50                                     // 000000004B14: 7E644532
	v_rcp_f32_e32 v51, v51                                     // 000000004B18: 7E664533
	v_rcp_f32_e32 v52, v52                                     // 000000004B1C: 7E684534
	v_rcp_f32_e32 v53, v53                                     // 000000004B20: 7E6A4535
	v_mul_f32_e32 v156, v156, v50                              // 000000004B24: 0B38659C
	v_mul_f32_e32 v157, v157, v51                              // 000000004B28: 0B3A679D
	v_mul_f32_e32 v158, v158, v52                              // 000000004B2C: 0B3C699E
	v_mul_f32_e32 v159, v159, v53                              // 000000004B30: 0B3E6B9F
	s_waitcnt vmcnt(24)                                        // 000000004B34: BF8C4F78
	buffer_load_dwordx4 a[64:67], v41, s[12:15], 0 offen       // 000000004B38: E05C1000 80834029
	v_mul_f32_e64 v50, -v160, s6                               // 000000004B40: D1050032 20000DA0
	v_mul_f32_e64 v51, -v161, s6                               // 000000004B48: D1050033 20000DA1
	v_mul_f32_e64 v52, -v162, s6                               // 000000004B50: D1050034 20000DA2
	v_mul_f32_e64 v53, -v163, s6                               // 000000004B58: D1050035 20000DA3
	v_exp_f32_e32 v50, v50                                     // 000000004B60: 7E644132
	v_exp_f32_e32 v51, v51                                     // 000000004B64: 7E664133
	v_exp_f32_e32 v52, v52                                     // 000000004B68: 7E684134
	v_exp_f32_e32 v53, v53                                     // 000000004B6C: 7E6A4135
	buffer_load_dwordx4 a[68:71], v42, s[12:15], 0 offen       // 000000004B70: E05C1000 8083442A
	v_add_f32_e64 v50, v50, 1.0                                // 000000004B78: D1010032 0001E532
	v_add_f32_e64 v51, v51, 1.0                                // 000000004B80: D1010033 0001E533
	v_add_f32_e64 v52, v52, 1.0                                // 000000004B88: D1010034 0001E534
	v_add_f32_e64 v53, v53, 1.0                                // 000000004B90: D1010035 0001E535
	v_rcp_f32_e32 v50, v50                                     // 000000004B98: 7E644532
	v_rcp_f32_e32 v51, v51                                     // 000000004B9C: 7E664533
	v_rcp_f32_e32 v52, v52                                     // 000000004BA0: 7E684534
	v_rcp_f32_e32 v53, v53                                     // 000000004BA4: 7E6A4535
	v_mul_f32_e32 v160, v160, v50                              // 000000004BA8: 0B4065A0
	v_mul_f32_e32 v161, v161, v51                              // 000000004BAC: 0B4267A1
	v_mul_f32_e32 v162, v162, v52                              // 000000004BB0: 0B4469A2
	v_mul_f32_e32 v163, v163, v53                              // 000000004BB4: 0B466BA3
	buffer_load_dwordx4 a[72:75], v43, s[12:15], 0 offen       // 000000004BB8: E05C1000 8083482B
	v_mul_f32_e64 v50, -v164, s6                               // 000000004BC0: D1050032 20000DA4
	v_mul_f32_e64 v51, -v165, s6                               // 000000004BC8: D1050033 20000DA5
	v_mul_f32_e64 v52, -v166, s6                               // 000000004BD0: D1050034 20000DA6
	v_mul_f32_e64 v53, -v167, s6                               // 000000004BD8: D1050035 20000DA7
	v_exp_f32_e32 v50, v50                                     // 000000004BE0: 7E644132
	v_exp_f32_e32 v51, v51                                     // 000000004BE4: 7E664133
	v_exp_f32_e32 v52, v52                                     // 000000004BE8: 7E684134
	v_exp_f32_e32 v53, v53                                     // 000000004BEC: 7E6A4135
	buffer_load_dwordx4 a[76:79], v44, s[12:15], 0 offen       // 000000004BF0: E05C1000 80834C2C
	s_add_u32 s12, s78, s12                                    // 000000004BF8: 800C0C4E
	s_addc_u32 s13, 0, s13                                     // 000000004BFC: 820D0D80
	v_add_f32_e64 v50, v50, 1.0                                // 000000004C00: D1010032 0001E532
	v_add_f32_e64 v51, v51, 1.0                                // 000000004C08: D1010033 0001E533
	v_add_f32_e64 v52, v52, 1.0                                // 000000004C10: D1010034 0001E534
	v_add_f32_e64 v53, v53, 1.0                                // 000000004C18: D1010035 0001E535
	v_rcp_f32_e32 v50, v50                                     // 000000004C20: 7E644532
	v_rcp_f32_e32 v51, v51                                     // 000000004C24: 7E664533
	v_rcp_f32_e32 v52, v52                                     // 000000004C28: 7E684534
	v_rcp_f32_e32 v53, v53                                     // 000000004C2C: 7E6A4535
	v_mul_f32_e32 v164, v164, v50                              // 000000004C30: 0B4865A4
	v_mul_f32_e32 v165, v165, v51                              // 000000004C34: 0B4A67A5
	v_mul_f32_e32 v166, v166, v52                              // 000000004C38: 0B4C69A6
	v_mul_f32_e32 v167, v167, v53                              // 000000004C3C: 0B4E6BA7
	s_waitcnt vmcnt(24)                                        // 000000004C40: BF8C4F78
	buffer_load_dwordx4 a[80:83], v41, s[12:15], 0 offen       // 000000004C44: E05C1000 80835029
	v_mul_f32_e64 v50, -v168, s6                               // 000000004C4C: D1050032 20000DA8
	v_mul_f32_e64 v51, -v169, s6                               // 000000004C54: D1050033 20000DA9
	v_mul_f32_e64 v52, -v170, s6                               // 000000004C5C: D1050034 20000DAA
	v_mul_f32_e64 v53, -v171, s6                               // 000000004C64: D1050035 20000DAB
	v_exp_f32_e32 v50, v50                                     // 000000004C6C: 7E644132
	v_exp_f32_e32 v51, v51                                     // 000000004C70: 7E664133
	v_exp_f32_e32 v52, v52                                     // 000000004C74: 7E684134
	v_exp_f32_e32 v53, v53                                     // 000000004C78: 7E6A4135
	buffer_load_dwordx4 a[84:87], v42, s[12:15], 0 offen       // 000000004C7C: E05C1000 8083542A
	v_add_f32_e64 v50, v50, 1.0                                // 000000004C84: D1010032 0001E532
	v_add_f32_e64 v51, v51, 1.0                                // 000000004C8C: D1010033 0001E533
	v_add_f32_e64 v52, v52, 1.0                                // 000000004C94: D1010034 0001E534
	v_add_f32_e64 v53, v53, 1.0                                // 000000004C9C: D1010035 0001E535
	v_rcp_f32_e32 v50, v50                                     // 000000004CA4: 7E644532
	v_rcp_f32_e32 v51, v51                                     // 000000004CA8: 7E664533
	v_rcp_f32_e32 v52, v52                                     // 000000004CAC: 7E684534
	v_rcp_f32_e32 v53, v53                                     // 000000004CB0: 7E6A4535
	v_mul_f32_e32 v168, v168, v50                              // 000000004CB4: 0B5065A8
	v_mul_f32_e32 v169, v169, v51                              // 000000004CB8: 0B5267A9
	v_mul_f32_e32 v170, v170, v52                              // 000000004CBC: 0B5469AA
	v_mul_f32_e32 v171, v171, v53                              // 000000004CC0: 0B566BAB
	buffer_load_dwordx4 a[88:91], v43, s[12:15], 0 offen       // 000000004CC4: E05C1000 8083582B
	v_mul_f32_e64 v50, -v172, s6                               // 000000004CCC: D1050032 20000DAC
	v_mul_f32_e64 v51, -v173, s6                               // 000000004CD4: D1050033 20000DAD
	v_mul_f32_e64 v52, -v174, s6                               // 000000004CDC: D1050034 20000DAE
	v_mul_f32_e64 v53, -v175, s6                               // 000000004CE4: D1050035 20000DAF
	v_exp_f32_e32 v50, v50                                     // 000000004CEC: 7E644132
	v_exp_f32_e32 v51, v51                                     // 000000004CF0: 7E664133
	v_exp_f32_e32 v52, v52                                     // 000000004CF4: 7E684134
	v_exp_f32_e32 v53, v53                                     // 000000004CF8: 7E6A4135
	buffer_load_dwordx4 a[92:95], v44, s[12:15], 0 offen       // 000000004CFC: E05C1000 80835C2C
	s_add_u32 s12, s78, s12                                    // 000000004D04: 800C0C4E
	s_addc_u32 s13, 0, s13                                     // 000000004D08: 820D0D80
	v_add_f32_e64 v50, v50, 1.0                                // 000000004D0C: D1010032 0001E532
	v_add_f32_e64 v51, v51, 1.0                                // 000000004D14: D1010033 0001E533
	v_add_f32_e64 v52, v52, 1.0                                // 000000004D1C: D1010034 0001E534
	v_add_f32_e64 v53, v53, 1.0                                // 000000004D24: D1010035 0001E535
	v_rcp_f32_e32 v50, v50                                     // 000000004D2C: 7E644532
	v_rcp_f32_e32 v51, v51                                     // 000000004D30: 7E664533
	v_rcp_f32_e32 v52, v52                                     // 000000004D34: 7E684534
	v_rcp_f32_e32 v53, v53                                     // 000000004D38: 7E6A4535
	v_mul_f32_e32 v172, v172, v50                              // 000000004D3C: 0B5865AC
	v_mul_f32_e32 v173, v173, v51                              // 000000004D40: 0B5A67AD
	v_mul_f32_e32 v174, v174, v52                              // 000000004D44: 0B5C69AE
	v_mul_f32_e32 v175, v175, v53                              // 000000004D48: 0B5E6BAF
	s_waitcnt vmcnt(24)                                        // 000000004D4C: BF8C4F78
	buffer_load_dwordx4 a[96:99], v41, s[12:15], 0 offen       // 000000004D50: E05C1000 80836029
	v_mul_f32_e64 v50, -v176, s6                               // 000000004D58: D1050032 20000DB0
	v_mul_f32_e64 v51, -v177, s6                               // 000000004D60: D1050033 20000DB1
	v_mul_f32_e64 v52, -v178, s6                               // 000000004D68: D1050034 20000DB2
	v_mul_f32_e64 v53, -v179, s6                               // 000000004D70: D1050035 20000DB3
	v_exp_f32_e32 v50, v50                                     // 000000004D78: 7E644132
	v_exp_f32_e32 v51, v51                                     // 000000004D7C: 7E664133
	v_exp_f32_e32 v52, v52                                     // 000000004D80: 7E684134
	v_exp_f32_e32 v53, v53                                     // 000000004D84: 7E6A4135
	buffer_load_dwordx4 a[100:103], v42, s[12:15], 0 offen     // 000000004D88: E05C1000 8083642A
	v_add_f32_e64 v50, v50, 1.0                                // 000000004D90: D1010032 0001E532
	v_add_f32_e64 v51, v51, 1.0                                // 000000004D98: D1010033 0001E533
	v_add_f32_e64 v52, v52, 1.0                                // 000000004DA0: D1010034 0001E534
	v_add_f32_e64 v53, v53, 1.0                                // 000000004DA8: D1010035 0001E535
	v_rcp_f32_e32 v50, v50                                     // 000000004DB0: 7E644532
	v_rcp_f32_e32 v51, v51                                     // 000000004DB4: 7E664533
	v_rcp_f32_e32 v52, v52                                     // 000000004DB8: 7E684534
	v_rcp_f32_e32 v53, v53                                     // 000000004DBC: 7E6A4535
	v_mul_f32_e32 v176, v176, v50                              // 000000004DC0: 0B6065B0
	v_mul_f32_e32 v177, v177, v51                              // 000000004DC4: 0B6267B1
	v_mul_f32_e32 v178, v178, v52                              // 000000004DC8: 0B6469B2
	v_mul_f32_e32 v179, v179, v53                              // 000000004DCC: 0B666BB3
	buffer_load_dwordx4 a[104:107], v43, s[12:15], 0 offen     // 000000004DD0: E05C1000 8083682B
	v_mul_f32_e64 v50, -v180, s6                               // 000000004DD8: D1050032 20000DB4
	v_mul_f32_e64 v51, -v181, s6                               // 000000004DE0: D1050033 20000DB5
	v_mul_f32_e64 v52, -v182, s6                               // 000000004DE8: D1050034 20000DB6
	v_mul_f32_e64 v53, -v183, s6                               // 000000004DF0: D1050035 20000DB7
	v_exp_f32_e32 v50, v50                                     // 000000004DF8: 7E644132
	v_exp_f32_e32 v51, v51                                     // 000000004DFC: 7E664133
	v_exp_f32_e32 v52, v52                                     // 000000004E00: 7E684134
	v_exp_f32_e32 v53, v53                                     // 000000004E04: 7E6A4135
	buffer_load_dwordx4 a[108:111], v44, s[12:15], 0 offen     // 000000004E08: E05C1000 80836C2C
	v_add_f32_e64 v50, v50, 1.0                                // 000000004E10: D1010032 0001E532
	v_add_f32_e64 v51, v51, 1.0                                // 000000004E18: D1010033 0001E533
	v_add_f32_e64 v52, v52, 1.0                                // 000000004E20: D1010034 0001E534
	v_add_f32_e64 v53, v53, 1.0                                // 000000004E28: D1010035 0001E535
	v_rcp_f32_e32 v50, v50                                     // 000000004E30: 7E644532
	v_rcp_f32_e32 v51, v51                                     // 000000004E34: 7E664533
	v_rcp_f32_e32 v52, v52                                     // 000000004E38: 7E684534
	v_rcp_f32_e32 v53, v53                                     // 000000004E3C: 7E6A4535
	v_mul_f32_e32 v180, v180, v50                              // 000000004E40: 0B6865B4
	v_mul_f32_e32 v181, v181, v51                              // 000000004E44: 0B6A67B5
	v_mul_f32_e32 v182, v182, v52                              // 000000004E48: 0B6C69B6
	v_mul_f32_e32 v183, v183, v53                              // 000000004E4C: 0B6E6BB7
	v_mul_f32_dpp v128, v18, v128 row_newbcast:0 row_mask:0xf bank_mask:0xf// 000000004E50: 0B0100FA FF015012
	v_mul_f32_dpp v129, v18, v129 row_newbcast:1 row_mask:0xf bank_mask:0xf// 000000004E58: 0B0302FA FF015112
	v_mul_f32_dpp v130, v18, v130 row_newbcast:2 row_mask:0xf bank_mask:0xf// 000000004E60: 0B0504FA FF015212
	v_mul_f32_dpp v131, v18, v131 row_newbcast:3 row_mask:0xf bank_mask:0xf// 000000004E68: 0B0706FA FF015312
	v_mul_f32_dpp v132, v18, v132 row_newbcast:0 row_mask:0xf bank_mask:0xf// 000000004E70: 0B0908FA FF015012
	v_mul_f32_dpp v133, v18, v133 row_newbcast:1 row_mask:0xf bank_mask:0xf// 000000004E78: 0B0B0AFA FF015112
	v_mul_f32_dpp v134, v18, v134 row_newbcast:2 row_mask:0xf bank_mask:0xf// 000000004E80: 0B0D0CFA FF015212
	v_mul_f32_dpp v135, v18, v135 row_newbcast:3 row_mask:0xf bank_mask:0xf// 000000004E88: 0B0F0EFA FF015312
	v_mul_f32_dpp v136, v18, v136 row_newbcast:4 row_mask:0xf bank_mask:0xf// 000000004E90: 0B1110FA FF015412
	v_mul_f32_dpp v137, v18, v137 row_newbcast:5 row_mask:0xf bank_mask:0xf// 000000004E98: 0B1312FA FF015512
	v_mul_f32_dpp v138, v18, v138 row_newbcast:6 row_mask:0xf bank_mask:0xf// 000000004EA0: 0B1514FA FF015612
	v_mul_f32_dpp v139, v18, v139 row_newbcast:7 row_mask:0xf bank_mask:0xf// 000000004EA8: 0B1716FA FF015712
	v_mul_f32_dpp v140, v18, v140 row_newbcast:4 row_mask:0xf bank_mask:0xf// 000000004EB0: 0B1918FA FF015412
	v_mul_f32_dpp v141, v18, v141 row_newbcast:5 row_mask:0xf bank_mask:0xf// 000000004EB8: 0B1B1AFA FF015512
	v_mul_f32_dpp v142, v18, v142 row_newbcast:6 row_mask:0xf bank_mask:0xf// 000000004EC0: 0B1D1CFA FF015612
	v_mul_f32_dpp v143, v18, v143 row_newbcast:7 row_mask:0xf bank_mask:0xf// 000000004EC8: 0B1F1EFA FF015712
	v_mul_f32_dpp v144, v18, v144 row_newbcast:8 row_mask:0xf bank_mask:0xf// 000000004ED0: 0B2120FA FF015812
	v_mul_f32_dpp v145, v18, v145 row_newbcast:9 row_mask:0xf bank_mask:0xf// 000000004ED8: 0B2322FA FF015912
	v_mul_f32_dpp v146, v18, v146 row_newbcast:10 row_mask:0xf bank_mask:0xf// 000000004EE0: 0B2524FA FF015A12
	v_mul_f32_dpp v147, v18, v147 row_newbcast:11 row_mask:0xf bank_mask:0xf// 000000004EE8: 0B2726FA FF015B12
	v_mul_f32_dpp v148, v18, v148 row_newbcast:8 row_mask:0xf bank_mask:0xf// 000000004EF0: 0B2928FA FF015812
	v_mul_f32_dpp v149, v18, v149 row_newbcast:9 row_mask:0xf bank_mask:0xf// 000000004EF8: 0B2B2AFA FF015912
	v_mul_f32_dpp v150, v18, v150 row_newbcast:10 row_mask:0xf bank_mask:0xf// 000000004F00: 0B2D2CFA FF015A12
	v_mul_f32_dpp v151, v18, v151 row_newbcast:11 row_mask:0xf bank_mask:0xf// 000000004F08: 0B2F2EFA FF015B12
	v_mul_f32_dpp v152, v18, v152 row_newbcast:12 row_mask:0xf bank_mask:0xf// 000000004F10: 0B3130FA FF015C12
	v_mul_f32_dpp v153, v18, v153 row_newbcast:13 row_mask:0xf bank_mask:0xf// 000000004F18: 0B3332FA FF015D12
	v_mul_f32_dpp v154, v18, v154 row_newbcast:14 row_mask:0xf bank_mask:0xf// 000000004F20: 0B3534FA FF015E12
	v_mul_f32_dpp v155, v18, v155 row_newbcast:15 row_mask:0xf bank_mask:0xf// 000000004F28: 0B3736FA FF015F12
	v_mul_f32_dpp v156, v18, v156 row_newbcast:12 row_mask:0xf bank_mask:0xf// 000000004F30: 0B3938FA FF015C12
	v_mul_f32_dpp v157, v18, v157 row_newbcast:13 row_mask:0xf bank_mask:0xf// 000000004F38: 0B3B3AFA FF015D12
	v_mul_f32_dpp v158, v18, v158 row_newbcast:14 row_mask:0xf bank_mask:0xf// 000000004F40: 0B3D3CFA FF015E12
	v_mul_f32_dpp v159, v18, v159 row_newbcast:15 row_mask:0xf bank_mask:0xf// 000000004F48: 0B3F3EFA FF015F12
	v_mul_f32_dpp v160, v19, v160 row_newbcast:0 row_mask:0xf bank_mask:0xf// 000000004F50: 0B4140FA FF015013
	v_mul_f32_dpp v161, v19, v161 row_newbcast:1 row_mask:0xf bank_mask:0xf// 000000004F58: 0B4342FA FF015113
	v_mul_f32_dpp v162, v19, v162 row_newbcast:2 row_mask:0xf bank_mask:0xf// 000000004F60: 0B4544FA FF015213
	v_mul_f32_dpp v163, v19, v163 row_newbcast:3 row_mask:0xf bank_mask:0xf// 000000004F68: 0B4746FA FF015313
	v_mul_f32_dpp v164, v19, v164 row_newbcast:0 row_mask:0xf bank_mask:0xf// 000000004F70: 0B4948FA FF015013
	v_mul_f32_dpp v165, v19, v165 row_newbcast:1 row_mask:0xf bank_mask:0xf// 000000004F78: 0B4B4AFA FF015113
	v_mul_f32_dpp v166, v19, v166 row_newbcast:2 row_mask:0xf bank_mask:0xf// 000000004F80: 0B4D4CFA FF015213
	v_mul_f32_dpp v167, v19, v167 row_newbcast:3 row_mask:0xf bank_mask:0xf// 000000004F88: 0B4F4EFA FF015313
	v_mul_f32_dpp v168, v19, v168 row_newbcast:4 row_mask:0xf bank_mask:0xf// 000000004F90: 0B5150FA FF015413
	v_mul_f32_dpp v169, v19, v169 row_newbcast:5 row_mask:0xf bank_mask:0xf// 000000004F98: 0B5352FA FF015513
	v_mul_f32_dpp v170, v19, v170 row_newbcast:6 row_mask:0xf bank_mask:0xf// 000000004FA0: 0B5554FA FF015613
	v_mul_f32_dpp v171, v19, v171 row_newbcast:7 row_mask:0xf bank_mask:0xf// 000000004FA8: 0B5756FA FF015713
	v_mul_f32_dpp v172, v19, v172 row_newbcast:4 row_mask:0xf bank_mask:0xf// 000000004FB0: 0B5958FA FF015413
	v_mul_f32_dpp v173, v19, v173 row_newbcast:5 row_mask:0xf bank_mask:0xf// 000000004FB8: 0B5B5AFA FF015513
	v_mul_f32_dpp v174, v19, v174 row_newbcast:6 row_mask:0xf bank_mask:0xf// 000000004FC0: 0B5D5CFA FF015613
	v_mul_f32_dpp v175, v19, v175 row_newbcast:7 row_mask:0xf bank_mask:0xf// 000000004FC8: 0B5F5EFA FF015713
	v_mul_f32_dpp v176, v19, v176 row_newbcast:8 row_mask:0xf bank_mask:0xf// 000000004FD0: 0B6160FA FF015813
	v_mul_f32_dpp v177, v19, v177 row_newbcast:9 row_mask:0xf bank_mask:0xf// 000000004FD8: 0B6362FA FF015913
	v_mul_f32_dpp v178, v19, v178 row_newbcast:10 row_mask:0xf bank_mask:0xf// 000000004FE0: 0B6564FA FF015A13
	v_mul_f32_dpp v179, v19, v179 row_newbcast:11 row_mask:0xf bank_mask:0xf// 000000004FE8: 0B6766FA FF015B13
	v_mul_f32_dpp v180, v19, v180 row_newbcast:8 row_mask:0xf bank_mask:0xf// 000000004FF0: 0B6968FA FF015813
	v_mul_f32_dpp v181, v19, v181 row_newbcast:9 row_mask:0xf bank_mask:0xf// 000000004FF8: 0B6B6AFA FF015913
	v_mul_f32_dpp v182, v19, v182 row_newbcast:10 row_mask:0xf bank_mask:0xf// 000000005000: 0B6D6CFA FF015A13
	v_mul_f32_dpp v183, v19, v183 row_newbcast:11 row_mask:0xf bank_mask:0xf// 000000005008: 0B6F6EFA FF015B13
	buffer_load_dword v12, v5, s[16:19], 0 offen               // 000000005010: E0501000 80040C05
	v_mov_b32_e32 v22, 0x358637bd                              // 000000005018: 7E2C02FF 358637BD
	v_mov_b32_e32 v23, 0x358637bd                              // 000000005020: 7E2E02FF 358637BD
	v_max3_f32 v22, |v128|, |v129|, v22                        // 000000005028: D1D30316 045B0380
	v_max3_f32 v22, |v130|, |v131|, v22                        // 000000005030: D1D30316 045B0782
	v_max3_f32 v23, |v132|, |v133|, v23                        // 000000005038: D1D30317 045F0B84
	v_max3_f32 v23, |v134|, |v135|, v23                        // 000000005040: D1D30317 045F0F86
	v_max3_f32 v22, |v136|, |v137|, v22                        // 000000005048: D1D30316 045B1388
	v_max3_f32 v22, |v138|, |v139|, v22                        // 000000005050: D1D30316 045B178A
	v_max3_f32 v23, |v140|, |v141|, v23                        // 000000005058: D1D30317 045F1B8C
	v_max3_f32 v23, |v142|, |v143|, v23                        // 000000005060: D1D30317 045F1F8E
	v_max3_f32 v22, |v144|, |v145|, v22                        // 000000005068: D1D30316 045B2390
	v_max3_f32 v22, |v146|, |v147|, v22                        // 000000005070: D1D30316 045B2792
	v_max3_f32 v23, |v148|, |v149|, v23                        // 000000005078: D1D30317 045F2B94
	v_max3_f32 v23, |v150|, |v151|, v23                        // 000000005080: D1D30317 045F2F96
	v_max3_f32 v22, |v152|, |v153|, v22                        // 000000005088: D1D30316 045B3398
	v_max3_f32 v22, |v154|, |v155|, v22                        // 000000005090: D1D30316 045B379A
	v_max3_f32 v23, |v156|, |v157|, v23                        // 000000005098: D1D30317 045F3B9C
	v_max3_f32 v23, |v158|, |v159|, v23                        // 0000000050A0: D1D30317 045F3F9E
	v_max3_f32 v22, |v160|, |v161|, v22                        // 0000000050A8: D1D30316 045B43A0
	v_max3_f32 v22, |v162|, |v163|, v22                        // 0000000050B0: D1D30316 045B47A2
	v_max3_f32 v23, |v164|, |v165|, v23                        // 0000000050B8: D1D30317 045F4BA4
	v_max3_f32 v23, |v166|, |v167|, v23                        // 0000000050C0: D1D30317 045F4FA6
	v_max3_f32 v22, |v168|, |v169|, v22                        // 0000000050C8: D1D30316 045B53A8
	v_max3_f32 v22, |v170|, |v171|, v22                        // 0000000050D0: D1D30316 045B57AA
	v_max3_f32 v23, |v172|, |v173|, v23                        // 0000000050D8: D1D30317 045F5BAC
	v_max3_f32 v23, |v174|, |v175|, v23                        // 0000000050E0: D1D30317 045F5FAE
	v_max3_f32 v22, |v176|, |v177|, v22                        // 0000000050E8: D1D30316 045B63B0
	v_max3_f32 v22, |v178|, |v179|, v22                        // 0000000050F0: D1D30316 045B67B2
	v_max3_f32 v23, |v180|, |v181|, v23                        // 0000000050F8: D1D30317 045F6BB4
	v_max3_f32 v23, |v182|, |v183|, v23                        // 000000005100: D1D30317 045F6FB6
	v_lshlrev_b32_e32 v50, 3, v0                               // 000000005108: 24640083
	s_mul_i32 s60, 0x200, s7                                   // 00000000510C: 923C07FF 00000200
	v_add_u32_e32 v50, s60, v50                                // 000000005114: 6864643C
	ds_write_b64 v50, v[22:23] offset:16640                    // 000000005118: D89A4100 00001632
	s_waitcnt lgkmcnt(0)                                       // 000000005120: BF8CC07F
	s_barrier                                                  // 000000005124: BF8A0000
	v_and_b32_e32 v50, 15, v0                                  // 000000005128: 2664008F
	v_lshlrev_b32_e32 v50, 3, v50                              // 00000000512C: 24646483
	ds_read_b64 v[96:97], v50 offset:16640                     // 000000005130: D8EC4100 60000032
	ds_read_b64 v[98:99], v50 offset:16768                     // 000000005138: D8EC4180 62000032
	ds_read_b64 v[100:101], v50 offset:16896                   // 000000005140: D8EC4200 64000032
	ds_read_b64 v[102:103], v50 offset:17024                   // 000000005148: D8EC4280 66000032
	ds_read_b64 v[104:105], v50 offset:17152                   // 000000005150: D8EC4300 68000032
	ds_read_b64 v[106:107], v50 offset:17280                   // 000000005158: D8EC4380 6A000032
	ds_read_b64 v[108:109], v50 offset:17408                   // 000000005160: D8EC4400 6C000032
	ds_read_b64 v[110:111], v50 offset:17536                   // 000000005168: D8EC4480 6E000032
	ds_read_b64 v[112:113], v50 offset:17664                   // 000000005170: D8EC4500 70000032
	ds_read_b64 v[114:115], v50 offset:17792                   // 000000005178: D8EC4580 72000032
	ds_read_b64 v[116:117], v50 offset:17920                   // 000000005180: D8EC4600 74000032
	ds_read_b64 v[118:119], v50 offset:18048                   // 000000005188: D8EC4680 76000032
	ds_read_b64 v[120:121], v50 offset:18176                   // 000000005190: D8EC4700 78000032
	ds_read_b64 v[122:123], v50 offset:18304                   // 000000005198: D8EC4780 7A000032
	ds_read_b64 v[124:125], v50 offset:18432                   // 0000000051A0: D8EC4800 7C000032
	ds_read_b64 v[126:127], v50 offset:18560                   // 0000000051A8: D8EC4880 7E000032
	s_waitcnt lgkmcnt(0)                                       // 0000000051B0: BF8CC07F
	v_max3_f32 v22, |v96|, |v98|, v22                          // 0000000051B4: D1D30316 045AC560
	v_max3_f32 v23, |v97|, |v99|, v23                          // 0000000051BC: D1D30317 045EC761
	v_max3_f32 v22, |v100|, |v102|, v22                        // 0000000051C4: D1D30316 045ACD64
	v_max3_f32 v23, |v101|, |v103|, v23                        // 0000000051CC: D1D30317 045ECF65
	v_max3_f32 v22, |v104|, |v106|, v22                        // 0000000051D4: D1D30316 045AD568
	v_max3_f32 v23, |v105|, |v107|, v23                        // 0000000051DC: D1D30317 045ED769
	v_max3_f32 v22, |v108|, |v110|, v22                        // 0000000051E4: D1D30316 045ADD6C
	v_max3_f32 v23, |v109|, |v111|, v23                        // 0000000051EC: D1D30317 045EDF6D
	v_max3_f32 v22, |v112|, |v114|, v22                        // 0000000051F4: D1D30316 045AE570
	v_max3_f32 v23, |v113|, |v115|, v23                        // 0000000051FC: D1D30317 045EE771
	v_max3_f32 v22, |v116|, |v118|, v22                        // 000000005204: D1D30316 045AED74
	v_max3_f32 v23, |v117|, |v119|, v23                        // 00000000520C: D1D30317 045EEF75
	v_max3_f32 v22, |v120|, |v122|, v22                        // 000000005214: D1D30316 045AF578
	v_max3_f32 v23, |v121|, |v123|, v23                        // 00000000521C: D1D30317 045EF779
	v_max3_f32 v22, |v124|, |v126|, v22                        // 000000005224: D1D30316 045AFD7C
	v_max3_f32 v23, |v125|, |v127|, v23                        // 00000000522C: D1D30317 045EFF7D
	v_rcp_f32_e32 v22, v22                                     // 000000005234: 7E2C4516
	v_rcp_f32_e32 v23, v23                                     // 000000005238: 7E2E4517
	v_mul_f32_e32 v22, 0x42fe0000, v22                         // 00000000523C: 0A2C2CFF 42FE0000
	v_mul_f32_e32 v23, 0x42fe0000, v23                         // 000000005244: 0A2E2EFF 42FE0000
	v_mul_f32_e32 v128, v22, v128                              // 00000000524C: 0B010116
	v_mul_f32_e32 v129, v22, v129                              // 000000005250: 0B030316
	v_mul_f32_e32 v130, v22, v130                              // 000000005254: 0B050516
	v_mul_f32_e32 v131, v22, v131                              // 000000005258: 0B070716
	v_cvt_i32_f32_e32 v128, v128                               // 00000000525C: 7F001180
	v_cvt_i32_f32_e32 v129, v129                               // 000000005260: 7F021181
	v_cvt_i32_f32_e32 v130, v130                               // 000000005264: 7F041182
	v_cvt_i32_f32_e32 v131, v131                               // 000000005268: 7F061183
	v_perm_b32 v128, v129, v128, s53                           // 00000000526C: D1ED0080 00D70181
	v_perm_b32 v128, v130, v128, s54                           // 000000005274: D1ED0080 00DB0182
	v_perm_b32 v128, v131, v128, s55                           // 00000000527C: D1ED0080 00DF0183
	v_mul_f32_e32 v132, v23, v132                              // 000000005284: 0B090917
	v_mul_f32_e32 v133, v23, v133                              // 000000005288: 0B0B0B17
	v_mul_f32_e32 v134, v23, v134                              // 00000000528C: 0B0D0D17
	v_mul_f32_e32 v135, v23, v135                              // 000000005290: 0B0F0F17
	v_cvt_i32_f32_e32 v132, v132                               // 000000005294: 7F081184
	v_cvt_i32_f32_e32 v133, v133                               // 000000005298: 7F0A1185
	v_cvt_i32_f32_e32 v134, v134                               // 00000000529C: 7F0C1186
	v_cvt_i32_f32_e32 v135, v135                               // 0000000052A0: 7F0E1187
	v_perm_b32 v129, v133, v132, s53                           // 0000000052A4: D1ED0081 00D70985
	v_perm_b32 v129, v134, v129, s54                           // 0000000052AC: D1ED0081 00DB0386
	v_perm_b32 v129, v135, v129, s55                           // 0000000052B4: D1ED0081 00DF0387
	v_mul_f32_e32 v136, v22, v136                              // 0000000052BC: 0B111116
	v_mul_f32_e32 v137, v22, v137                              // 0000000052C0: 0B131316
	v_mul_f32_e32 v138, v22, v138                              // 0000000052C4: 0B151516
	v_mul_f32_e32 v139, v22, v139                              // 0000000052C8: 0B171716
	v_cvt_i32_f32_e32 v136, v136                               // 0000000052CC: 7F101188
	v_cvt_i32_f32_e32 v137, v137                               // 0000000052D0: 7F121189
	v_cvt_i32_f32_e32 v138, v138                               // 0000000052D4: 7F14118A
	v_cvt_i32_f32_e32 v139, v139                               // 0000000052D8: 7F16118B
	v_perm_b32 v130, v137, v136, s53                           // 0000000052DC: D1ED0082 00D71189
	v_perm_b32 v130, v138, v130, s54                           // 0000000052E4: D1ED0082 00DB058A
	v_perm_b32 v130, v139, v130, s55                           // 0000000052EC: D1ED0082 00DF058B
	v_mul_f32_e32 v140, v23, v140                              // 0000000052F4: 0B191917
	v_mul_f32_e32 v141, v23, v141                              // 0000000052F8: 0B1B1B17
	v_mul_f32_e32 v142, v23, v142                              // 0000000052FC: 0B1D1D17
	v_mul_f32_e32 v143, v23, v143                              // 000000005300: 0B1F1F17
	v_cvt_i32_f32_e32 v140, v140                               // 000000005304: 7F18118C
	v_cvt_i32_f32_e32 v141, v141                               // 000000005308: 7F1A118D
	v_cvt_i32_f32_e32 v142, v142                               // 00000000530C: 7F1C118E
	v_cvt_i32_f32_e32 v143, v143                               // 000000005310: 7F1E118F
	v_perm_b32 v131, v141, v140, s53                           // 000000005314: D1ED0083 00D7198D
	v_perm_b32 v131, v142, v131, s54                           // 00000000531C: D1ED0083 00DB078E
	v_perm_b32 v131, v143, v131, s55                           // 000000005324: D1ED0083 00DF078F
	v_mul_f32_e32 v144, v22, v144                              // 00000000532C: 0B212116
	v_mul_f32_e32 v145, v22, v145                              // 000000005330: 0B232316
	v_mul_f32_e32 v146, v22, v146                              // 000000005334: 0B252516
	v_mul_f32_e32 v147, v22, v147                              // 000000005338: 0B272716
	v_cvt_i32_f32_e32 v144, v144                               // 00000000533C: 7F201190
	v_cvt_i32_f32_e32 v145, v145                               // 000000005340: 7F221191
	v_cvt_i32_f32_e32 v146, v146                               // 000000005344: 7F241192
	v_cvt_i32_f32_e32 v147, v147                               // 000000005348: 7F261193
	v_perm_b32 v132, v145, v144, s53                           // 00000000534C: D1ED0084 00D72191
	v_perm_b32 v132, v146, v132, s54                           // 000000005354: D1ED0084 00DB0992
	v_perm_b32 v132, v147, v132, s55                           // 00000000535C: D1ED0084 00DF0993
	v_mul_f32_e32 v148, v23, v148                              // 000000005364: 0B292917
	v_mul_f32_e32 v149, v23, v149                              // 000000005368: 0B2B2B17
	v_mul_f32_e32 v150, v23, v150                              // 00000000536C: 0B2D2D17
	v_mul_f32_e32 v151, v23, v151                              // 000000005370: 0B2F2F17
	v_cvt_i32_f32_e32 v148, v148                               // 000000005374: 7F281194
	v_cvt_i32_f32_e32 v149, v149                               // 000000005378: 7F2A1195
	v_cvt_i32_f32_e32 v150, v150                               // 00000000537C: 7F2C1196
	v_cvt_i32_f32_e32 v151, v151                               // 000000005380: 7F2E1197
	v_perm_b32 v133, v149, v148, s53                           // 000000005384: D1ED0085 00D72995
	v_perm_b32 v133, v150, v133, s54                           // 00000000538C: D1ED0085 00DB0B96
	v_perm_b32 v133, v151, v133, s55                           // 000000005394: D1ED0085 00DF0B97
	v_mul_f32_e32 v152, v22, v152                              // 00000000539C: 0B313116
	v_mul_f32_e32 v153, v22, v153                              // 0000000053A0: 0B333316
	v_mul_f32_e32 v154, v22, v154                              // 0000000053A4: 0B353516
	v_mul_f32_e32 v155, v22, v155                              // 0000000053A8: 0B373716
	v_cvt_i32_f32_e32 v152, v152                               // 0000000053AC: 7F301198
	v_cvt_i32_f32_e32 v153, v153                               // 0000000053B0: 7F321199
	v_cvt_i32_f32_e32 v154, v154                               // 0000000053B4: 7F34119A
	v_cvt_i32_f32_e32 v155, v155                               // 0000000053B8: 7F36119B
	v_perm_b32 v134, v153, v152, s53                           // 0000000053BC: D1ED0086 00D73199
	v_perm_b32 v134, v154, v134, s54                           // 0000000053C4: D1ED0086 00DB0D9A
	v_perm_b32 v134, v155, v134, s55                           // 0000000053CC: D1ED0086 00DF0D9B
	v_mul_f32_e32 v156, v23, v156                              // 0000000053D4: 0B393917
	v_mul_f32_e32 v157, v23, v157                              // 0000000053D8: 0B3B3B17
	v_mul_f32_e32 v158, v23, v158                              // 0000000053DC: 0B3D3D17
	v_mul_f32_e32 v159, v23, v159                              // 0000000053E0: 0B3F3F17
	v_cvt_i32_f32_e32 v156, v156                               // 0000000053E4: 7F38119C
	v_cvt_i32_f32_e32 v157, v157                               // 0000000053E8: 7F3A119D
	v_cvt_i32_f32_e32 v158, v158                               // 0000000053EC: 7F3C119E
	v_cvt_i32_f32_e32 v159, v159                               // 0000000053F0: 7F3E119F
	v_perm_b32 v135, v157, v156, s53                           // 0000000053F4: D1ED0087 00D7399D
	v_perm_b32 v135, v158, v135, s54                           // 0000000053FC: D1ED0087 00DB0F9E
	v_perm_b32 v135, v159, v135, s55                           // 000000005404: D1ED0087 00DF0F9F
	v_mul_f32_e32 v160, v22, v160                              // 00000000540C: 0B414116
	v_mul_f32_e32 v161, v22, v161                              // 000000005410: 0B434316
	v_mul_f32_e32 v162, v22, v162                              // 000000005414: 0B454516
	v_mul_f32_e32 v163, v22, v163                              // 000000005418: 0B474716
	v_cvt_i32_f32_e32 v160, v160                               // 00000000541C: 7F4011A0
	v_cvt_i32_f32_e32 v161, v161                               // 000000005420: 7F4211A1
	v_cvt_i32_f32_e32 v162, v162                               // 000000005424: 7F4411A2
	v_cvt_i32_f32_e32 v163, v163                               // 000000005428: 7F4611A3
	v_perm_b32 v136, v161, v160, s53                           // 00000000542C: D1ED0088 00D741A1
	v_perm_b32 v136, v162, v136, s54                           // 000000005434: D1ED0088 00DB11A2
	v_perm_b32 v136, v163, v136, s55                           // 00000000543C: D1ED0088 00DF11A3
	v_mul_f32_e32 v164, v23, v164                              // 000000005444: 0B494917
	v_mul_f32_e32 v165, v23, v165                              // 000000005448: 0B4B4B17
	v_mul_f32_e32 v166, v23, v166                              // 00000000544C: 0B4D4D17
	v_mul_f32_e32 v167, v23, v167                              // 000000005450: 0B4F4F17
	v_cvt_i32_f32_e32 v164, v164                               // 000000005454: 7F4811A4
	v_cvt_i32_f32_e32 v165, v165                               // 000000005458: 7F4A11A5
	v_cvt_i32_f32_e32 v166, v166                               // 00000000545C: 7F4C11A6
	v_cvt_i32_f32_e32 v167, v167                               // 000000005460: 7F4E11A7
	v_perm_b32 v137, v165, v164, s53                           // 000000005464: D1ED0089 00D749A5
	v_perm_b32 v137, v166, v137, s54                           // 00000000546C: D1ED0089 00DB13A6
	v_perm_b32 v137, v167, v137, s55                           // 000000005474: D1ED0089 00DF13A7
	v_mul_f32_e32 v168, v22, v168                              // 00000000547C: 0B515116
	v_mul_f32_e32 v169, v22, v169                              // 000000005480: 0B535316
	v_mul_f32_e32 v170, v22, v170                              // 000000005484: 0B555516
	v_mul_f32_e32 v171, v22, v171                              // 000000005488: 0B575716
	v_cvt_i32_f32_e32 v168, v168                               // 00000000548C: 7F5011A8
	v_cvt_i32_f32_e32 v169, v169                               // 000000005490: 7F5211A9
	v_cvt_i32_f32_e32 v170, v170                               // 000000005494: 7F5411AA
	v_cvt_i32_f32_e32 v171, v171                               // 000000005498: 7F5611AB
	v_perm_b32 v138, v169, v168, s53                           // 00000000549C: D1ED008A 00D751A9
	v_perm_b32 v138, v170, v138, s54                           // 0000000054A4: D1ED008A 00DB15AA
	v_perm_b32 v138, v171, v138, s55                           // 0000000054AC: D1ED008A 00DF15AB
	v_mul_f32_e32 v172, v23, v172                              // 0000000054B4: 0B595917
	v_mul_f32_e32 v173, v23, v173                              // 0000000054B8: 0B5B5B17
	v_mul_f32_e32 v174, v23, v174                              // 0000000054BC: 0B5D5D17
	v_mul_f32_e32 v175, v23, v175                              // 0000000054C0: 0B5F5F17
	v_cvt_i32_f32_e32 v172, v172                               // 0000000054C4: 7F5811AC
	v_cvt_i32_f32_e32 v173, v173                               // 0000000054C8: 7F5A11AD
	v_cvt_i32_f32_e32 v174, v174                               // 0000000054CC: 7F5C11AE
	v_cvt_i32_f32_e32 v175, v175                               // 0000000054D0: 7F5E11AF
	v_perm_b32 v139, v173, v172, s53                           // 0000000054D4: D1ED008B 00D759AD
	v_perm_b32 v139, v174, v139, s54                           // 0000000054DC: D1ED008B 00DB17AE
	v_perm_b32 v139, v175, v139, s55                           // 0000000054E4: D1ED008B 00DF17AF
	v_mul_f32_e32 v176, v22, v176                              // 0000000054EC: 0B616116
	v_mul_f32_e32 v177, v22, v177                              // 0000000054F0: 0B636316
	v_mul_f32_e32 v178, v22, v178                              // 0000000054F4: 0B656516
	v_mul_f32_e32 v179, v22, v179                              // 0000000054F8: 0B676716
	v_cvt_i32_f32_e32 v176, v176                               // 0000000054FC: 7F6011B0
	v_cvt_i32_f32_e32 v177, v177                               // 000000005500: 7F6211B1
	v_cvt_i32_f32_e32 v178, v178                               // 000000005504: 7F6411B2
	v_cvt_i32_f32_e32 v179, v179                               // 000000005508: 7F6611B3
	v_perm_b32 v140, v177, v176, s53                           // 00000000550C: D1ED008C 00D761B1
	v_perm_b32 v140, v178, v140, s54                           // 000000005514: D1ED008C 00DB19B2
	v_perm_b32 v140, v179, v140, s55                           // 00000000551C: D1ED008C 00DF19B3
	v_mul_f32_e32 v180, v23, v180                              // 000000005524: 0B696917
	v_mul_f32_e32 v181, v23, v181                              // 000000005528: 0B6B6B17
	v_mul_f32_e32 v182, v23, v182                              // 00000000552C: 0B6D6D17
	v_mul_f32_e32 v183, v23, v183                              // 000000005530: 0B6F6F17
	v_cvt_i32_f32_e32 v180, v180                               // 000000005534: 7F6811B4
	v_cvt_i32_f32_e32 v181, v181                               // 000000005538: 7F6A11B5
	v_cvt_i32_f32_e32 v182, v182                               // 00000000553C: 7F6C11B6
	v_cvt_i32_f32_e32 v183, v183                               // 000000005540: 7F6E11B7
	v_perm_b32 v141, v181, v180, s53                           // 000000005544: D1ED008D 00D769B5
	v_perm_b32 v141, v182, v141, s54                           // 00000000554C: D1ED008D 00DB1BB6
	v_perm_b32 v141, v183, v141, s55                           // 000000005554: D1ED008D 00DF1BB7
	v_rcp_f32_e32 v24, v22                                     // 00000000555C: 7E304516
	v_rcp_f32_e32 v25, v23                                     // 000000005560: 7E324517
	v_lshrrev_b32_e32 v50, 5, v0                               // 000000005564: 20640085
	v_lshlrev_b32_e32 v51, 5, v50                              // 000000005568: 24666485
	v_and_b32_e32 v50, 31, v0                                  // 00000000556C: 2664009F
	v_lshrrev_b32_e32 v52, 4, v50                              // 000000005570: 20686484
	v_add_u32_e32 v51, v52, v51                                // 000000005574: 68666734
	v_and_b32_e32 v50, 15, v0                                  // 000000005578: 2664008F
	v_lshlrev_b32_e32 v50, 1, v50                              // 00000000557C: 24646481
	v_add_u32_e32 v51, v50, v51                                // 000000005580: 68666732
	v_lshlrev_b32_e32 v50, 2, v51                              // 000000005584: 24646682
	s_mul_i32 s60, 0x100, s7                                   // 000000005588: 923C07FF 00000100
	v_add_u32_e64 v50, v50, s60                                // 000000005590: D1340032 00007932
	ds_write_b32 v50, v128 offset:18688                        // 000000005598: D81A4900 00008032
	ds_write_b32 v50, v129 offset:25856                        // 0000000055A0: D81A6500 00008132
	ds_write_b32 v50, v130 offset:19712                        // 0000000055A8: D81A4D00 00008232
	ds_write_b32 v50, v131 offset:26880                        // 0000000055B0: D81A6900 00008332
	ds_write_b32 v50, v132 offset:20736                        // 0000000055B8: D81A5100 00008432
	ds_write_b32 v50, v133 offset:27904                        // 0000000055C0: D81A6D00 00008532
	ds_write_b32 v50, v134 offset:21760                        // 0000000055C8: D81A5500 00008632
	ds_write_b32 v50, v135 offset:28928                        // 0000000055D0: D81A7100 00008732
	ds_write_b32 v50, v136 offset:22784                        // 0000000055D8: D81A5900 00008832
	ds_write_b32 v50, v137 offset:29952                        // 0000000055E0: D81A7500 00008932
	ds_write_b32 v50, v138 offset:23808                        // 0000000055E8: D81A5D00 00008A32
	ds_write_b32 v50, v139 offset:30976                        // 0000000055F0: D81A7900 00008B32
	ds_write_b32 v50, v140 offset:24832                        // 0000000055F8: D81A6100 00008C32
	ds_write_b32 v50, v141 offset:32000                        // 000000005600: D81A7D00 00008D32
	s_waitcnt lgkmcnt(0)                                       // 000000005608: BF8CC07F
	s_barrier                                                  // 00000000560C: BF8A0000
	v_lshrrev_b32_e32 v50, 4, v0                               // 000000005610: 20640084
	v_lshlrev_b32_e32 v51, 6, v50                              // 000000005614: 24666486
	v_and_b32_e32 v50, 15, v0                                  // 000000005618: 2664008F
	v_lshlrev_b32_e32 v50, 1, v50                              // 00000000561C: 24646481
	v_add_u32_e32 v51, v50, v51                                // 000000005620: 68666732
	v_lshlrev_b32_e32 v50, 2, v51                              // 000000005624: 24646682
	ds_read_b64 v[128:129], v50 offset:18688                   // 000000005628: D8EC4900 80000032
	ds_read_b64 v[130:131], v50 offset:18816                   // 000000005630: D8EC4980 82000032
	ds_read_b64 v[132:133], v50 offset:19712                   // 000000005638: D8EC4D00 84000032
	ds_read_b64 v[134:135], v50 offset:19840                   // 000000005640: D8EC4D80 86000032
	ds_read_b64 v[136:137], v50 offset:20736                   // 000000005648: D8EC5100 88000032
	ds_read_b64 v[138:139], v50 offset:20864                   // 000000005650: D8EC5180 8A000032
	ds_read_b64 v[140:141], v50 offset:21760                   // 000000005658: D8EC5500 8C000032
	ds_read_b64 v[142:143], v50 offset:21888                   // 000000005660: D8EC5580 8E000032
	ds_read_b64 v[144:145], v50 offset:22784                   // 000000005668: D8EC5900 90000032
	ds_read_b64 v[146:147], v50 offset:22912                   // 000000005670: D8EC5980 92000032
	ds_read_b64 v[148:149], v50 offset:23808                   // 000000005678: D8EC5D00 94000032
	ds_read_b64 v[150:151], v50 offset:23936                   // 000000005680: D8EC5D80 96000032
	ds_read_b64 v[152:153], v50 offset:24832                   // 000000005688: D8EC6100 98000032
	ds_read_b64 v[154:155], v50 offset:24960                   // 000000005690: D8EC6180 9A000032
	ds_read_b64 v[156:157], v50 offset:25856                   // 000000005698: D8EC6500 9C000032
	ds_read_b64 v[158:159], v50 offset:25984                   // 0000000056A0: D8EC6580 9E000032
	ds_read_b64 v[160:161], v50 offset:26880                   // 0000000056A8: D8EC6900 A0000032
	ds_read_b64 v[162:163], v50 offset:27008                   // 0000000056B0: D8EC6980 A2000032
	ds_read_b64 v[164:165], v50 offset:27904                   // 0000000056B8: D8EC6D00 A4000032
	ds_read_b64 v[166:167], v50 offset:28032                   // 0000000056C0: D8EC6D80 A6000032
	ds_read_b64 v[168:169], v50 offset:28928                   // 0000000056C8: D8EC7100 A8000032
	ds_read_b64 v[170:171], v50 offset:29056                   // 0000000056D0: D8EC7180 AA000032
	ds_read_b64 v[172:173], v50 offset:29952                   // 0000000056D8: D8EC7500 AC000032
	ds_read_b64 v[174:175], v50 offset:30080                   // 0000000056E0: D8EC7580 AE000032
	ds_read_b64 v[176:177], v50 offset:30976                   // 0000000056E8: D8EC7900 B0000032
	ds_read_b64 v[178:179], v50 offset:31104                   // 0000000056F0: D8EC7980 B2000032
	ds_read_b64 v[180:181], v50 offset:32000                   // 0000000056F8: D8EC7D00 B4000032
	ds_read_b64 v[182:183], v50 offset:32128                   // 000000005700: D8EC7D80 B6000032
	s_add_u32 s12, s56, s12                                    // 000000005708: 800C0C38
	s_addc_u32 s13, 0, s13                                     // 00000000570C: 820D0D80
	s_add_u32 s16, s79, s16                                    // 000000005710: 8010104F
	s_addc_u32 s17, 0, s17                                     // 000000005714: 82111180
	s_mov_b32 s80, 0                                           // 000000005718: BED00080
	s_waitcnt vmcnt(0) expcnt(0) lgkmcnt(0)                    // 00000000571C: BF8C0000

0000000000005720 <label_0A48>:
	s_waitcnt vmcnt(41)                                        // 000000005720: BF8C8F79
	s_barrier                                                  // 000000005724: BF8A0000
	v_mfma_i32_16x16x32_i8 v[184:187], a[0:1], v[128:129], 0   // 000000005728: D3D700B8 0A030100
	v_mfma_i32_16x16x32_i8 v[184:187], a[2:3], v[130:131], v[184:187]// 000000005730: D3D700B8 0EE30502
	buffer_load_dwordx4 a[112:115], v41, s[12:15], 0 offen     // 000000005738: E05C1000 80837029
	v_mfma_i32_16x16x32_i8 v[188:191], a[0:1], v[156:157], 0   // 000000005740: D3D700BC 0A033900
	v_mfma_i32_16x16x32_i8 v[188:191], a[2:3], v[158:159], v[188:191]// 000000005748: D3D700BC 0EF33D02
	v_mfma_i32_16x16x32_i8 v[192:195], a[4:5], v[128:129], 0   // 000000005750: D3D700C0 0A030104
	v_mfma_i32_16x16x32_i8 v[192:195], a[6:7], v[130:131], v[192:195]// 000000005758: D3D700C0 0F030506
	buffer_load_dwordx4 a[116:119], v42, s[12:15], 0 offen     // 000000005760: E05C1000 8083742A
	v_mfma_i32_16x16x32_i8 v[196:199], a[4:5], v[156:157], 0   // 000000005768: D3D700C4 0A033904
	v_mfma_i32_16x16x32_i8 v[196:199], a[6:7], v[158:159], v[196:199]// 000000005770: D3D700C4 0F133D06
	v_mfma_i32_16x16x32_i8 v[200:203], a[8:9], v[128:129], 0   // 000000005778: D3D700C8 0A030108
	v_mfma_i32_16x16x32_i8 v[200:203], a[10:11], v[130:131], v[200:203]// 000000005780: D3D700C8 0F23050A
	buffer_load_dwordx4 a[120:123], v43, s[12:15], 0 offen     // 000000005788: E05C1000 8083782B
	v_mfma_i32_16x16x32_i8 v[204:207], a[8:9], v[156:157], 0   // 000000005790: D3D700CC 0A033908
	v_mfma_i32_16x16x32_i8 v[204:207], a[10:11], v[158:159], v[204:207]// 000000005798: D3D700CC 0F333D0A
	v_mfma_i32_16x16x32_i8 v[208:211], a[12:13], v[128:129], 0 // 0000000057A0: D3D700D0 0A03010C
	v_mfma_i32_16x16x32_i8 v[208:211], a[14:15], v[130:131], v[208:211]// 0000000057A8: D3D700D0 0F43050E
	buffer_load_dwordx4 a[124:127], v44, s[12:15], 0 offen     // 0000000057B0: E05C1000 80837C2C
	s_add_u32 s12, s78, s12                                    // 0000000057B8: 800C0C4E
	s_addc_u32 s13, 0, s13                                     // 0000000057BC: 820D0D80
	v_mfma_i32_16x16x32_i8 v[212:215], a[12:13], v[156:157], 0 // 0000000057C0: D3D700D4 0A03390C
	v_mfma_i32_16x16x32_i8 v[212:215], a[14:15], v[158:159], v[212:215]// 0000000057C8: D3D700D4 0F533D0E
	s_waitcnt vmcnt(41)                                        // 0000000057D0: BF8C8F79
	v_mfma_i32_16x16x32_i8 v[184:187], a[16:17], v[132:133], v[184:187]// 0000000057D4: D3D700B8 0EE30910
	v_mfma_i32_16x16x32_i8 v[184:187], a[18:19], v[134:135], v[184:187]// 0000000057DC: D3D700B8 0EE30D12
	buffer_load_dwordx4 a[128:131], v41, s[12:15], 0 offen     // 0000000057E4: E05C1000 80838029
	v_mfma_i32_16x16x32_i8 v[188:191], a[16:17], v[160:161], v[188:191]// 0000000057EC: D3D700BC 0EF34110
	v_mfma_i32_16x16x32_i8 v[188:191], a[18:19], v[162:163], v[188:191]// 0000000057F4: D3D700BC 0EF34512
	v_mfma_i32_16x16x32_i8 v[192:195], a[20:21], v[132:133], v[192:195]// 0000000057FC: D3D700C0 0F030914
	v_mfma_i32_16x16x32_i8 v[192:195], a[22:23], v[134:135], v[192:195]// 000000005804: D3D700C0 0F030D16
	buffer_load_dwordx4 a[132:135], v42, s[12:15], 0 offen     // 00000000580C: E05C1000 8083842A
	v_mfma_i32_16x16x32_i8 v[196:199], a[20:21], v[160:161], v[196:199]// 000000005814: D3D700C4 0F134114
	v_mfma_i32_16x16x32_i8 v[196:199], a[22:23], v[162:163], v[196:199]// 00000000581C: D3D700C4 0F134516
	v_mfma_i32_16x16x32_i8 v[200:203], a[24:25], v[132:133], v[200:203]// 000000005824: D3D700C8 0F230918
	v_mfma_i32_16x16x32_i8 v[200:203], a[26:27], v[134:135], v[200:203]// 00000000582C: D3D700C8 0F230D1A
	buffer_load_dwordx4 a[136:139], v43, s[12:15], 0 offen     // 000000005834: E05C1000 8083882B
	v_mfma_i32_16x16x32_i8 v[204:207], a[24:25], v[160:161], v[204:207]// 00000000583C: D3D700CC 0F334118
	v_mfma_i32_16x16x32_i8 v[204:207], a[26:27], v[162:163], v[204:207]// 000000005844: D3D700CC 0F33451A
	v_mfma_i32_16x16x32_i8 v[208:211], a[28:29], v[132:133], v[208:211]// 00000000584C: D3D700D0 0F43091C
	v_mfma_i32_16x16x32_i8 v[208:211], a[30:31], v[134:135], v[208:211]// 000000005854: D3D700D0 0F430D1E
	buffer_load_dwordx4 a[140:143], v44, s[12:15], 0 offen     // 00000000585C: E05C1000 80838C2C
	s_add_u32 s12, s78, s12                                    // 000000005864: 800C0C4E
	s_addc_u32 s13, 0, s13                                     // 000000005868: 820D0D80
	v_mfma_i32_16x16x32_i8 v[212:215], a[28:29], v[160:161], v[212:215]// 00000000586C: D3D700D4 0F53411C
	v_mfma_i32_16x16x32_i8 v[212:215], a[30:31], v[162:163], v[212:215]// 000000005874: D3D700D4 0F53451E
	s_waitcnt vmcnt(41)                                        // 00000000587C: BF8C8F79
	v_mfma_i32_16x16x32_i8 v[184:187], a[32:33], v[136:137], v[184:187]// 000000005880: D3D700B8 0EE31120
	v_mfma_i32_16x16x32_i8 v[184:187], a[34:35], v[138:139], v[184:187]// 000000005888: D3D700B8 0EE31522
	buffer_load_dwordx4 a[144:147], v41, s[12:15], 0 offen     // 000000005890: E05C1000 80839029
	v_mfma_i32_16x16x32_i8 v[188:191], a[32:33], v[164:165], v[188:191]// 000000005898: D3D700BC 0EF34920
	v_mfma_i32_16x16x32_i8 v[188:191], a[34:35], v[166:167], v[188:191]// 0000000058A0: D3D700BC 0EF34D22
	v_mfma_i32_16x16x32_i8 v[192:195], a[36:37], v[136:137], v[192:195]// 0000000058A8: D3D700C0 0F031124
	v_mfma_i32_16x16x32_i8 v[192:195], a[38:39], v[138:139], v[192:195]// 0000000058B0: D3D700C0 0F031526
	buffer_load_dwordx4 a[148:151], v42, s[12:15], 0 offen     // 0000000058B8: E05C1000 8083942A
	v_mfma_i32_16x16x32_i8 v[196:199], a[36:37], v[164:165], v[196:199]// 0000000058C0: D3D700C4 0F134924
	v_mfma_i32_16x16x32_i8 v[196:199], a[38:39], v[166:167], v[196:199]// 0000000058C8: D3D700C4 0F134D26
	v_mfma_i32_16x16x32_i8 v[200:203], a[40:41], v[136:137], v[200:203]// 0000000058D0: D3D700C8 0F231128
	v_mfma_i32_16x16x32_i8 v[200:203], a[42:43], v[138:139], v[200:203]// 0000000058D8: D3D700C8 0F23152A
	buffer_load_dwordx4 a[152:155], v43, s[12:15], 0 offen     // 0000000058E0: E05C1000 8083982B
	v_mfma_i32_16x16x32_i8 v[204:207], a[40:41], v[164:165], v[204:207]// 0000000058E8: D3D700CC 0F334928
	v_mfma_i32_16x16x32_i8 v[204:207], a[42:43], v[166:167], v[204:207]// 0000000058F0: D3D700CC 0F334D2A
	v_mfma_i32_16x16x32_i8 v[208:211], a[44:45], v[136:137], v[208:211]// 0000000058F8: D3D700D0 0F43112C
	v_mfma_i32_16x16x32_i8 v[208:211], a[46:47], v[138:139], v[208:211]// 000000005900: D3D700D0 0F43152E
	buffer_load_dwordx4 a[156:159], v44, s[12:15], 0 offen     // 000000005908: E05C1000 80839C2C
	s_add_u32 s12, s78, s12                                    // 000000005910: 800C0C4E
	s_addc_u32 s13, 0, s13                                     // 000000005914: 820D0D80
	v_mfma_i32_16x16x32_i8 v[212:215], a[44:45], v[164:165], v[212:215]// 000000005918: D3D700D4 0F53492C
	v_mfma_i32_16x16x32_i8 v[212:215], a[46:47], v[166:167], v[212:215]// 000000005920: D3D700D4 0F534D2E
	s_waitcnt vmcnt(41)                                        // 000000005928: BF8C8F79
	v_mfma_i32_16x16x32_i8 v[184:187], a[48:49], v[140:141], v[184:187]// 00000000592C: D3D700B8 0EE31930
	v_mfma_i32_16x16x32_i8 v[184:187], a[50:51], v[142:143], v[184:187]// 000000005934: D3D700B8 0EE31D32
	buffer_load_dwordx4 a[160:163], v41, s[12:15], 0 offen     // 00000000593C: E05C1000 8083A029
	v_mfma_i32_16x16x32_i8 v[188:191], a[48:49], v[168:169], v[188:191]// 000000005944: D3D700BC 0EF35130
	v_mfma_i32_16x16x32_i8 v[188:191], a[50:51], v[170:171], v[188:191]// 00000000594C: D3D700BC 0EF35532
	v_mfma_i32_16x16x32_i8 v[192:195], a[52:53], v[140:141], v[192:195]// 000000005954: D3D700C0 0F031934
	v_mfma_i32_16x16x32_i8 v[192:195], a[54:55], v[142:143], v[192:195]// 00000000595C: D3D700C0 0F031D36
	buffer_load_dwordx4 a[164:167], v42, s[12:15], 0 offen     // 000000005964: E05C1000 8083A42A
	v_mfma_i32_16x16x32_i8 v[196:199], a[52:53], v[168:169], v[196:199]// 00000000596C: D3D700C4 0F135134
	v_mfma_i32_16x16x32_i8 v[196:199], a[54:55], v[170:171], v[196:199]// 000000005974: D3D700C4 0F135536
	v_mfma_i32_16x16x32_i8 v[200:203], a[56:57], v[140:141], v[200:203]// 00000000597C: D3D700C8 0F231938
	v_mfma_i32_16x16x32_i8 v[200:203], a[58:59], v[142:143], v[200:203]// 000000005984: D3D700C8 0F231D3A
	buffer_load_dwordx4 a[168:171], v43, s[12:15], 0 offen     // 00000000598C: E05C1000 8083A82B
	v_mfma_i32_16x16x32_i8 v[204:207], a[56:57], v[168:169], v[204:207]// 000000005994: D3D700CC 0F335138
	v_mfma_i32_16x16x32_i8 v[204:207], a[58:59], v[170:171], v[204:207]// 00000000599C: D3D700CC 0F33553A
	v_mfma_i32_16x16x32_i8 v[208:211], a[60:61], v[140:141], v[208:211]// 0000000059A4: D3D700D0 0F43193C
	v_mfma_i32_16x16x32_i8 v[208:211], a[62:63], v[142:143], v[208:211]// 0000000059AC: D3D700D0 0F431D3E
	buffer_load_dwordx4 a[172:175], v44, s[12:15], 0 offen     // 0000000059B4: E05C1000 8083AC2C
	s_add_u32 s12, s78, s12                                    // 0000000059BC: 800C0C4E
	s_addc_u32 s13, 0, s13                                     // 0000000059C0: 820D0D80
	v_mfma_i32_16x16x32_i8 v[212:215], a[60:61], v[168:169], v[212:215]// 0000000059C4: D3D700D4 0F53513C
	v_mfma_i32_16x16x32_i8 v[212:215], a[62:63], v[170:171], v[212:215]// 0000000059CC: D3D700D4 0F53553E
	s_waitcnt vmcnt(41)                                        // 0000000059D4: BF8C8F79
	v_mfma_i32_16x16x32_i8 v[184:187], a[64:65], v[144:145], v[184:187]// 0000000059D8: D3D700B8 0EE32140
	v_mfma_i32_16x16x32_i8 v[184:187], a[66:67], v[146:147], v[184:187]// 0000000059E0: D3D700B8 0EE32542
	buffer_load_dwordx4 a[176:179], v41, s[12:15], 0 offen     // 0000000059E8: E05C1000 8083B029
	v_mfma_i32_16x16x32_i8 v[188:191], a[64:65], v[172:173], v[188:191]// 0000000059F0: D3D700BC 0EF35940
	v_mfma_i32_16x16x32_i8 v[188:191], a[66:67], v[174:175], v[188:191]// 0000000059F8: D3D700BC 0EF35D42
	v_mfma_i32_16x16x32_i8 v[192:195], a[68:69], v[144:145], v[192:195]// 000000005A00: D3D700C0 0F032144
	v_mfma_i32_16x16x32_i8 v[192:195], a[70:71], v[146:147], v[192:195]// 000000005A08: D3D700C0 0F032546
	buffer_load_dwordx4 a[180:183], v42, s[12:15], 0 offen     // 000000005A10: E05C1000 8083B42A
	v_mfma_i32_16x16x32_i8 v[196:199], a[68:69], v[172:173], v[196:199]// 000000005A18: D3D700C4 0F135944
	v_mfma_i32_16x16x32_i8 v[196:199], a[70:71], v[174:175], v[196:199]// 000000005A20: D3D700C4 0F135D46
	v_mfma_i32_16x16x32_i8 v[200:203], a[72:73], v[144:145], v[200:203]// 000000005A28: D3D700C8 0F232148
	v_mfma_i32_16x16x32_i8 v[200:203], a[74:75], v[146:147], v[200:203]// 000000005A30: D3D700C8 0F23254A
	buffer_load_dwordx4 a[184:187], v43, s[12:15], 0 offen     // 000000005A38: E05C1000 8083B82B
	v_mfma_i32_16x16x32_i8 v[204:207], a[72:73], v[172:173], v[204:207]// 000000005A40: D3D700CC 0F335948
	v_mfma_i32_16x16x32_i8 v[204:207], a[74:75], v[174:175], v[204:207]// 000000005A48: D3D700CC 0F335D4A
	v_mfma_i32_16x16x32_i8 v[208:211], a[76:77], v[144:145], v[208:211]// 000000005A50: D3D700D0 0F43214C
	v_mfma_i32_16x16x32_i8 v[208:211], a[78:79], v[146:147], v[208:211]// 000000005A58: D3D700D0 0F43254E
	buffer_load_dwordx4 a[188:191], v44, s[12:15], 0 offen     // 000000005A60: E05C1000 8083BC2C
	s_add_u32 s12, s78, s12                                    // 000000005A68: 800C0C4E
	s_addc_u32 s13, 0, s13                                     // 000000005A6C: 820D0D80
	v_mfma_i32_16x16x32_i8 v[212:215], a[76:77], v[172:173], v[212:215]// 000000005A70: D3D700D4 0F53594C
	v_mfma_i32_16x16x32_i8 v[212:215], a[78:79], v[174:175], v[212:215]// 000000005A78: D3D700D4 0F535D4E
	s_waitcnt vmcnt(41)                                        // 000000005A80: BF8C8F79
	v_mfma_i32_16x16x32_i8 v[184:187], a[80:81], v[148:149], v[184:187]// 000000005A84: D3D700B8 0EE32950
	v_mfma_i32_16x16x32_i8 v[184:187], a[82:83], v[150:151], v[184:187]// 000000005A8C: D3D700B8 0EE32D52
	buffer_load_dwordx4 a[192:195], v41, s[12:15], 0 offen     // 000000005A94: E05C1000 8083C029
	v_mfma_i32_16x16x32_i8 v[188:191], a[80:81], v[176:177], v[188:191]// 000000005A9C: D3D700BC 0EF36150
	v_mfma_i32_16x16x32_i8 v[188:191], a[82:83], v[178:179], v[188:191]// 000000005AA4: D3D700BC 0EF36552
	v_mfma_i32_16x16x32_i8 v[192:195], a[84:85], v[148:149], v[192:195]// 000000005AAC: D3D700C0 0F032954
	v_mfma_i32_16x16x32_i8 v[192:195], a[86:87], v[150:151], v[192:195]// 000000005AB4: D3D700C0 0F032D56
	buffer_load_dwordx4 a[196:199], v42, s[12:15], 0 offen     // 000000005ABC: E05C1000 8083C42A
	v_mfma_i32_16x16x32_i8 v[196:199], a[84:85], v[176:177], v[196:199]// 000000005AC4: D3D700C4 0F136154
	v_mfma_i32_16x16x32_i8 v[196:199], a[86:87], v[178:179], v[196:199]// 000000005ACC: D3D700C4 0F136556
	v_mfma_i32_16x16x32_i8 v[200:203], a[88:89], v[148:149], v[200:203]// 000000005AD4: D3D700C8 0F232958
	v_mfma_i32_16x16x32_i8 v[200:203], a[90:91], v[150:151], v[200:203]// 000000005ADC: D3D700C8 0F232D5A
	buffer_load_dwordx4 a[200:203], v43, s[12:15], 0 offen     // 000000005AE4: E05C1000 8083C82B
	v_mfma_i32_16x16x32_i8 v[204:207], a[88:89], v[176:177], v[204:207]// 000000005AEC: D3D700CC 0F336158
	v_mfma_i32_16x16x32_i8 v[204:207], a[90:91], v[178:179], v[204:207]// 000000005AF4: D3D700CC 0F33655A
	v_mfma_i32_16x16x32_i8 v[208:211], a[92:93], v[148:149], v[208:211]// 000000005AFC: D3D700D0 0F43295C
	v_mfma_i32_16x16x32_i8 v[208:211], a[94:95], v[150:151], v[208:211]// 000000005B04: D3D700D0 0F432D5E
	buffer_load_dwordx4 a[204:207], v44, s[12:15], 0 offen     // 000000005B0C: E05C1000 8083CC2C
	s_add_u32 s12, s78, s12                                    // 000000005B14: 800C0C4E
	s_addc_u32 s13, 0, s13                                     // 000000005B18: 820D0D80
	v_mfma_i32_16x16x32_i8 v[212:215], a[92:93], v[176:177], v[212:215]// 000000005B1C: D3D700D4 0F53615C
	v_mfma_i32_16x16x32_i8 v[212:215], a[94:95], v[178:179], v[212:215]// 000000005B24: D3D700D4 0F53655E
	s_waitcnt vmcnt(40)                                        // 000000005B2C: BF8C8F78
	v_mfma_i32_16x16x32_i8 v[184:187], a[96:97], v[152:153], v[184:187]// 000000005B30: D3D700B8 0EE33160
	v_mfma_i32_16x16x32_i8 v[184:187], a[98:99], v[154:155], v[184:187]// 000000005B38: D3D700B8 0EE33562
	buffer_load_dwordx4 a[208:211], v41, s[12:15], 0 offen     // 000000005B40: E05C1000 8083D029
	v_mfma_i32_16x16x32_i8 v[188:191], a[96:97], v[180:181], v[188:191]// 000000005B48: D3D700BC 0EF36960
	v_mfma_i32_16x16x32_i8 v[188:191], a[98:99], v[182:183], v[188:191]// 000000005B50: D3D700BC 0EF36D62
	buffer_load_dword v13, v5, s[16:19], 0 offen               // 000000005B58: E0501000 80040D05
	v_mfma_i32_16x16x32_i8 v[192:195], a[100:101], v[152:153], v[192:195]// 000000005B60: D3D700C0 0F033164
	v_mfma_i32_16x16x32_i8 v[192:195], a[102:103], v[154:155], v[192:195]// 000000005B68: D3D700C0 0F033566
	buffer_load_dwordx4 a[212:215], v42, s[12:15], 0 offen     // 000000005B70: E05C1000 8083D42A
	v_mfma_i32_16x16x32_i8 v[196:199], a[100:101], v[180:181], v[196:199]// 000000005B78: D3D700C4 0F136964
	v_mfma_i32_16x16x32_i8 v[196:199], a[102:103], v[182:183], v[196:199]// 000000005B80: D3D700C4 0F136D66
	v_mfma_i32_16x16x32_i8 v[200:203], a[104:105], v[152:153], v[200:203]// 000000005B88: D3D700C8 0F233168
	v_mfma_i32_16x16x32_i8 v[200:203], a[106:107], v[154:155], v[200:203]// 000000005B90: D3D700C8 0F23356A
	buffer_load_dwordx4 a[216:219], v43, s[12:15], 0 offen     // 000000005B98: E05C1000 8083D82B
	v_mfma_i32_16x16x32_i8 v[204:207], a[104:105], v[180:181], v[204:207]// 000000005BA0: D3D700CC 0F336968
	v_mfma_i32_16x16x32_i8 v[204:207], a[106:107], v[182:183], v[204:207]// 000000005BA8: D3D700CC 0F336D6A
	v_mfma_i32_16x16x32_i8 v[208:211], a[108:109], v[152:153], v[208:211]// 000000005BB0: D3D700D0 0F43316C
	v_mfma_i32_16x16x32_i8 v[208:211], a[110:111], v[154:155], v[208:211]// 000000005BB8: D3D700D0 0F43356E
	buffer_load_dwordx4 a[220:223], v44, s[12:15], 0 offen     // 000000005BC0: E05C1000 8083DC2C
	v_mfma_i32_16x16x32_i8 v[212:215], a[108:109], v[180:181], v[212:215]// 000000005BC8: D3D700D4 0F53696C
	v_mfma_i32_16x16x32_i8 v[212:215], a[110:111], v[182:183], v[212:215]// 000000005BD0: D3D700D4 0F536D6E
	s_add_u32 s60, 0x200, s80                                  // 000000005BD8: 803C50FF 00000200
	s_cmp_lt_u32 s60, s81                                      // 000000005BE0: BF0A513C
	s_cselect_b32 s56, s56, 0                                  // 000000005BE4: 85388038
	s_cselect_b32 s78, s78, 0                                  // 000000005BE8: 854E804E
	s_cselect_b32 s79, s79, 0                                  // 000000005BEC: 854F804F
	s_add_u32 s12, s56, s12                                    // 000000005BF0: 800C0C38
	s_addc_u32 s13, 0, s13                                     // 000000005BF4: 820D0D80
	s_add_u32 s16, s79, s16                                    // 000000005BF8: 8010104F
	s_addc_u32 s17, 0, s17                                     // 000000005BFC: 82111180
	v_cvt_f32_i32_e32 v184, v184                               // 000000005C00: 7F700BB8
	v_cvt_f32_i32_e32 v185, v185                               // 000000005C04: 7F720BB9
	v_cvt_f32_i32_e32 v186, v186                               // 000000005C08: 7F740BBA
	v_cvt_f32_i32_e32 v187, v187                               // 000000005C0C: 7F760BBB
	v_mul_f32_e32 v184, v24, v184                              // 000000005C10: 0B717118
	v_mul_f32_e32 v185, v24, v185                              // 000000005C14: 0B737318
	v_mul_f32_e32 v186, v24, v186                              // 000000005C18: 0B757518
	v_mul_f32_e32 v187, v24, v187                              // 000000005C1C: 0B777718
	v_mul_f32_dpp v184, v12, v184 row_newbcast:0 row_mask:0xf bank_mask:0xf// 000000005C20: 0B7170FA FF01500C
	v_mul_f32_dpp v185, v12, v185 row_newbcast:1 row_mask:0xf bank_mask:0xf// 000000005C28: 0B7372FA FF01510C
	v_mul_f32_dpp v186, v12, v186 row_newbcast:2 row_mask:0xf bank_mask:0xf// 000000005C30: 0B7574FA FF01520C
	v_mul_f32_dpp v187, v12, v187 row_newbcast:3 row_mask:0xf bank_mask:0xf// 000000005C38: 0B7776FA FF01530C
	v_mul_f32_e32 v184, v20, v184                              // 000000005C40: 0B717114
	v_mul_f32_e32 v185, v20, v185                              // 000000005C44: 0B737314
	v_mul_f32_e32 v186, v20, v186                              // 000000005C48: 0B757514
	v_mul_f32_e32 v187, v20, v187                              // 000000005C4C: 0B777714
	v_cvt_f32_i32_e32 v188, v188                               // 000000005C50: 7F780BBC
	v_cvt_f32_i32_e32 v189, v189                               // 000000005C54: 7F7A0BBD
	v_cvt_f32_i32_e32 v190, v190                               // 000000005C58: 7F7C0BBE
	v_cvt_f32_i32_e32 v191, v191                               // 000000005C5C: 7F7E0BBF
	v_mul_f32_e32 v188, v25, v188                              // 000000005C60: 0B797919
	v_mul_f32_e32 v189, v25, v189                              // 000000005C64: 0B7B7B19
	v_mul_f32_e32 v190, v25, v190                              // 000000005C68: 0B7D7D19
	v_mul_f32_e32 v191, v25, v191                              // 000000005C6C: 0B7F7F19
	v_mul_f32_dpp v188, v12, v188 row_newbcast:0 row_mask:0xf bank_mask:0xf// 000000005C70: 0B7978FA FF01500C
	v_mul_f32_dpp v189, v12, v189 row_newbcast:1 row_mask:0xf bank_mask:0xf// 000000005C78: 0B7B7AFA FF01510C
	v_mul_f32_dpp v190, v12, v190 row_newbcast:2 row_mask:0xf bank_mask:0xf// 000000005C80: 0B7D7CFA FF01520C
	v_mul_f32_dpp v191, v12, v191 row_newbcast:3 row_mask:0xf bank_mask:0xf// 000000005C88: 0B7F7EFA FF01530C
	v_mul_f32_e32 v188, v21, v188                              // 000000005C90: 0B797915
	v_mul_f32_e32 v189, v21, v189                              // 000000005C94: 0B7B7B15
	v_mul_f32_e32 v190, v21, v190                              // 000000005C98: 0B7D7D15
	v_mul_f32_e32 v191, v21, v191                              // 000000005C9C: 0B7F7F15
	v_cvt_f32_i32_e32 v192, v192                               // 000000005CA0: 7F800BC0
	v_cvt_f32_i32_e32 v193, v193                               // 000000005CA4: 7F820BC1
	v_cvt_f32_i32_e32 v194, v194                               // 000000005CA8: 7F840BC2
	v_cvt_f32_i32_e32 v195, v195                               // 000000005CAC: 7F860BC3
	v_mul_f32_e32 v192, v24, v192                              // 000000005CB0: 0B818118
	v_mul_f32_e32 v193, v24, v193                              // 000000005CB4: 0B838318
	v_mul_f32_e32 v194, v24, v194                              // 000000005CB8: 0B858518
	v_mul_f32_e32 v195, v24, v195                              // 000000005CBC: 0B878718
	v_mul_f32_dpp v192, v12, v192 row_newbcast:4 row_mask:0xf bank_mask:0xf// 000000005CC0: 0B8180FA FF01540C
	v_mul_f32_dpp v193, v12, v193 row_newbcast:5 row_mask:0xf bank_mask:0xf// 000000005CC8: 0B8382FA FF01550C
	v_mul_f32_dpp v194, v12, v194 row_newbcast:6 row_mask:0xf bank_mask:0xf// 000000005CD0: 0B8584FA FF01560C
	v_mul_f32_dpp v195, v12, v195 row_newbcast:7 row_mask:0xf bank_mask:0xf// 000000005CD8: 0B8786FA FF01570C
	v_mul_f32_e32 v192, v20, v192                              // 000000005CE0: 0B818114
	v_mul_f32_e32 v193, v20, v193                              // 000000005CE4: 0B838314
	v_mul_f32_e32 v194, v20, v194                              // 000000005CE8: 0B858514
	v_mul_f32_e32 v195, v20, v195                              // 000000005CEC: 0B878714
	v_cvt_f32_i32_e32 v196, v196                               // 000000005CF0: 7F880BC4
	v_cvt_f32_i32_e32 v197, v197                               // 000000005CF4: 7F8A0BC5
	v_cvt_f32_i32_e32 v198, v198                               // 000000005CF8: 7F8C0BC6
	v_cvt_f32_i32_e32 v199, v199                               // 000000005CFC: 7F8E0BC7
	v_mul_f32_e32 v196, v25, v196                              // 000000005D00: 0B898919
	v_mul_f32_e32 v197, v25, v197                              // 000000005D04: 0B8B8B19
	v_mul_f32_e32 v198, v25, v198                              // 000000005D08: 0B8D8D19
	v_mul_f32_e32 v199, v25, v199                              // 000000005D0C: 0B8F8F19
	v_mul_f32_dpp v196, v12, v196 row_newbcast:4 row_mask:0xf bank_mask:0xf// 000000005D10: 0B8988FA FF01540C
	v_mul_f32_dpp v197, v12, v197 row_newbcast:5 row_mask:0xf bank_mask:0xf// 000000005D18: 0B8B8AFA FF01550C
	v_mul_f32_dpp v198, v12, v198 row_newbcast:6 row_mask:0xf bank_mask:0xf// 000000005D20: 0B8D8CFA FF01560C
	v_mul_f32_dpp v199, v12, v199 row_newbcast:7 row_mask:0xf bank_mask:0xf// 000000005D28: 0B8F8EFA FF01570C
	v_mul_f32_e32 v196, v21, v196                              // 000000005D30: 0B898915
	v_mul_f32_e32 v197, v21, v197                              // 000000005D34: 0B8B8B15
	v_mul_f32_e32 v198, v21, v198                              // 000000005D38: 0B8D8D15
	v_mul_f32_e32 v199, v21, v199                              // 000000005D3C: 0B8F8F15
	v_cvt_f32_i32_e32 v200, v200                               // 000000005D40: 7F900BC8
	v_cvt_f32_i32_e32 v201, v201                               // 000000005D44: 7F920BC9
	v_cvt_f32_i32_e32 v202, v202                               // 000000005D48: 7F940BCA
	v_cvt_f32_i32_e32 v203, v203                               // 000000005D4C: 7F960BCB
	v_mul_f32_e32 v200, v24, v200                              // 000000005D50: 0B919118
	v_mul_f32_e32 v201, v24, v201                              // 000000005D54: 0B939318
	v_mul_f32_e32 v202, v24, v202                              // 000000005D58: 0B959518
	v_mul_f32_e32 v203, v24, v203                              // 000000005D5C: 0B979718
	v_mul_f32_dpp v200, v12, v200 row_newbcast:8 row_mask:0xf bank_mask:0xf// 000000005D60: 0B9190FA FF01580C
	v_mul_f32_dpp v201, v12, v201 row_newbcast:9 row_mask:0xf bank_mask:0xf// 000000005D68: 0B9392FA FF01590C
	v_mul_f32_dpp v202, v12, v202 row_newbcast:10 row_mask:0xf bank_mask:0xf// 000000005D70: 0B9594FA FF015A0C
	v_mul_f32_dpp v203, v12, v203 row_newbcast:11 row_mask:0xf bank_mask:0xf// 000000005D78: 0B9796FA FF015B0C
	v_mul_f32_e32 v200, v20, v200                              // 000000005D80: 0B919114
	v_mul_f32_e32 v201, v20, v201                              // 000000005D84: 0B939314
	v_mul_f32_e32 v202, v20, v202                              // 000000005D88: 0B959514
	v_mul_f32_e32 v203, v20, v203                              // 000000005D8C: 0B979714
	v_cvt_f32_i32_e32 v204, v204                               // 000000005D90: 7F980BCC
	v_cvt_f32_i32_e32 v205, v205                               // 000000005D94: 7F9A0BCD
	v_cvt_f32_i32_e32 v206, v206                               // 000000005D98: 7F9C0BCE
	v_cvt_f32_i32_e32 v207, v207                               // 000000005D9C: 7F9E0BCF
	v_mul_f32_e32 v204, v25, v204                              // 000000005DA0: 0B999919
	v_mul_f32_e32 v205, v25, v205                              // 000000005DA4: 0B9B9B19
	v_mul_f32_e32 v206, v25, v206                              // 000000005DA8: 0B9D9D19
	v_mul_f32_e32 v207, v25, v207                              // 000000005DAC: 0B9F9F19
	v_mul_f32_dpp v204, v12, v204 row_newbcast:8 row_mask:0xf bank_mask:0xf// 000000005DB0: 0B9998FA FF01580C
	v_mul_f32_dpp v205, v12, v205 row_newbcast:9 row_mask:0xf bank_mask:0xf// 000000005DB8: 0B9B9AFA FF01590C
	v_mul_f32_dpp v206, v12, v206 row_newbcast:10 row_mask:0xf bank_mask:0xf// 000000005DC0: 0B9D9CFA FF015A0C
	v_mul_f32_dpp v207, v12, v207 row_newbcast:11 row_mask:0xf bank_mask:0xf// 000000005DC8: 0B9F9EFA FF015B0C
	v_mul_f32_e32 v204, v21, v204                              // 000000005DD0: 0B999915
	v_mul_f32_e32 v205, v21, v205                              // 000000005DD4: 0B9B9B15
	v_mul_f32_e32 v206, v21, v206                              // 000000005DD8: 0B9D9D15
	v_mul_f32_e32 v207, v21, v207                              // 000000005DDC: 0B9F9F15
	v_cvt_f32_i32_e32 v208, v208                               // 000000005DE0: 7FA00BD0
	v_cvt_f32_i32_e32 v209, v209                               // 000000005DE4: 7FA20BD1
	v_cvt_f32_i32_e32 v210, v210                               // 000000005DE8: 7FA40BD2
	v_cvt_f32_i32_e32 v211, v211                               // 000000005DEC: 7FA60BD3
	v_mul_f32_e32 v208, v24, v208                              // 000000005DF0: 0BA1A118
	v_mul_f32_e32 v209, v24, v209                              // 000000005DF4: 0BA3A318
	v_mul_f32_e32 v210, v24, v210                              // 000000005DF8: 0BA5A518
	v_mul_f32_e32 v211, v24, v211                              // 000000005DFC: 0BA7A718
	v_mul_f32_dpp v208, v12, v208 row_newbcast:12 row_mask:0xf bank_mask:0xf// 000000005E00: 0BA1A0FA FF015C0C
	v_mul_f32_dpp v209, v12, v209 row_newbcast:13 row_mask:0xf bank_mask:0xf// 000000005E08: 0BA3A2FA FF015D0C
	v_mul_f32_dpp v210, v12, v210 row_newbcast:14 row_mask:0xf bank_mask:0xf// 000000005E10: 0BA5A4FA FF015E0C
	v_mul_f32_dpp v211, v12, v211 row_newbcast:15 row_mask:0xf bank_mask:0xf// 000000005E18: 0BA7A6FA FF015F0C
	v_mul_f32_e32 v208, v20, v208                              // 000000005E20: 0BA1A114
	v_mul_f32_e32 v209, v20, v209                              // 000000005E24: 0BA3A314
	v_mul_f32_e32 v210, v20, v210                              // 000000005E28: 0BA5A514
	v_mul_f32_e32 v211, v20, v211                              // 000000005E2C: 0BA7A714
	v_cvt_f32_i32_e32 v212, v212                               // 000000005E30: 7FA80BD4
	v_cvt_f32_i32_e32 v213, v213                               // 000000005E34: 7FAA0BD5
	v_cvt_f32_i32_e32 v214, v214                               // 000000005E38: 7FAC0BD6
	v_cvt_f32_i32_e32 v215, v215                               // 000000005E3C: 7FAE0BD7
	v_mul_f32_e32 v212, v25, v212                              // 000000005E40: 0BA9A919
	v_mul_f32_e32 v213, v25, v213                              // 000000005E44: 0BABAB19
	v_mul_f32_e32 v214, v25, v214                              // 000000005E48: 0BADAD19
	v_mul_f32_e32 v215, v25, v215                              // 000000005E4C: 0BAFAF19
	v_mul_f32_dpp v212, v12, v212 row_newbcast:12 row_mask:0xf bank_mask:0xf// 000000005E50: 0BA9A8FA FF015C0C
	v_mul_f32_dpp v213, v12, v213 row_newbcast:13 row_mask:0xf bank_mask:0xf// 000000005E58: 0BABAAFA FF015D0C
	v_mul_f32_dpp v214, v12, v214 row_newbcast:14 row_mask:0xf bank_mask:0xf// 000000005E60: 0BADACFA FF015E0C
	v_mul_f32_dpp v215, v12, v215 row_newbcast:15 row_mask:0xf bank_mask:0xf// 000000005E68: 0BAFAEFA FF015F0C
	v_mul_f32_e32 v212, v21, v212                              // 000000005E70: 0BA9A915
	v_mul_f32_e32 v213, v21, v213                              // 000000005E74: 0BABAB15
	v_mul_f32_e32 v214, v21, v214                              // 000000005E78: 0BADAD15
	v_mul_f32_e32 v215, v21, v215                              // 000000005E7C: 0BAFAF15
	v_cvt_pkrtz_f16_f32 v184, v184, v185                       // 000000005E80: D29600B8 000373B8
	v_cvt_pkrtz_f16_f32 v185, v186, v187                       // 000000005E88: D29600B9 000377BA
	v_cvt_pkrtz_f16_f32 v186, v188, v189                       // 000000005E90: D29600BA 00037BBC
	v_cvt_pkrtz_f16_f32 v187, v190, v191                       // 000000005E98: D29600BB 00037FBE
	v_cvt_pkrtz_f16_f32 v188, v192, v193                       // 000000005EA0: D29600BC 000383C0
	v_cvt_pkrtz_f16_f32 v189, v194, v195                       // 000000005EA8: D29600BD 000387C2
	v_cvt_pkrtz_f16_f32 v190, v196, v197                       // 000000005EB0: D29600BE 00038BC4
	v_cvt_pkrtz_f16_f32 v191, v198, v199                       // 000000005EB8: D29600BF 00038FC6
	v_cvt_pkrtz_f16_f32 v192, v200, v201                       // 000000005EC0: D29600C0 000393C8
	v_cvt_pkrtz_f16_f32 v193, v202, v203                       // 000000005EC8: D29600C1 000397CA
	v_cvt_pkrtz_f16_f32 v194, v204, v205                       // 000000005ED0: D29600C2 00039BCC
	v_cvt_pkrtz_f16_f32 v195, v206, v207                       // 000000005ED8: D29600C3 00039FCE
	v_cvt_pkrtz_f16_f32 v196, v208, v209                       // 000000005EE0: D29600C4 0003A3D0
	v_cvt_pkrtz_f16_f32 v197, v210, v211                       // 000000005EE8: D29600C5 0003A7D2
	v_cvt_pkrtz_f16_f32 v198, v212, v213                       // 000000005EF0: D29600C6 0003ABD4
	v_cvt_pkrtz_f16_f32 v199, v214, v215                       // 000000005EF8: D29600C7 0003AFD6
	ds_write_b64 v3, v[184:185] offset:33024                   // 000000005F00: D89A8100 0000B803
	ds_write_b64 v3, v[186:187] offset:41728                   // 000000005F08: D89AA300 0000BA03
	ds_write_b64 v3, v[188:189] offset:35200                   // 000000005F10: D89A8980 0000BC03
	ds_write_b64 v3, v[190:191] offset:43904                   // 000000005F18: D89AAB80 0000BE03
	ds_write_b64 v3, v[192:193] offset:37376                   // 000000005F20: D89A9200 0000C003
	ds_write_b64 v3, v[194:195] offset:46080                   // 000000005F28: D89AB400 0000C203
	ds_write_b64 v3, v[196:197] offset:39552                   // 000000005F30: D89A9A80 0000C403
	ds_write_b64 v3, v[198:199] offset:48256                   // 000000005F38: D89ABC80 0000C603
	s_waitcnt lgkmcnt(0)                                       // 000000005F40: BF8CC07F
	s_barrier                                                  // 000000005F44: BF8A0000
	ds_read_b32 v64, v4 offset:33024                           // 000000005F48: D86C8100 40000004
	ds_read_b32 v65, v4 offset:37376                           // 000000005F50: D86C9200 41000004
	ds_read_b32 v66, v4 offset:33056                           // 000000005F58: D86C8120 42000004
	ds_read_b32 v67, v4 offset:37408                           // 000000005F60: D86C9220 43000004
	ds_read_b32 v68, v4 offset:33088                           // 000000005F68: D86C8140 44000004
	ds_read_b32 v69, v4 offset:37440                           // 000000005F70: D86C9240 45000004
	ds_read_b32 v70, v4 offset:33120                           // 000000005F78: D86C8160 46000004
	ds_read_b32 v71, v4 offset:37472                           // 000000005F80: D86C9260 47000004
	ds_read_b32 v72, v4 offset:41728                           // 000000005F88: D86CA300 48000004
	ds_read_b32 v73, v4 offset:46080                           // 000000005F90: D86CB400 49000004
	ds_read_b32 v74, v4 offset:41760                           // 000000005F98: D86CA320 4A000004
	ds_read_b32 v75, v4 offset:46112                           // 000000005FA0: D86CB420 4B000004
	ds_read_b32 v76, v4 offset:41792                           // 000000005FA8: D86CA340 4C000004
	ds_read_b32 v77, v4 offset:46144                           // 000000005FB0: D86CB440 4D000004
	ds_read_b32 v78, v4 offset:41824                           // 000000005FB8: D86CA360 4E000004
	ds_read_b32 v79, v4 offset:46176                           // 000000005FC0: D86CB460 4F000004
	s_waitcnt lgkmcnt(0)                                       // 000000005FC8: BF8CC07F
	s_mov_b64 exec, s[20:21]                                   // 000000005FCC: BEFE0114
	global_atomic_pk_add_f16 v80, v64, s[8:9]                  // 000000005FD0: DD388000 00084050
	s_mov_b64 exec, s[36:37]                                   // 000000005FD8: BEFE0124
	s_mov_b64 exec, s[20:21]                                   // 000000005FDC: BEFE0114
	global_atomic_pk_add_f16 v80, v65, s[8:9] offset:256       // 000000005FE0: DD388100 00084150
	s_mov_b64 exec, s[36:37]                                   // 000000005FE8: BEFE0124
	s_mov_b64 exec, s[22:23]                                   // 000000005FEC: BEFE0116
	global_atomic_pk_add_f16 v82, v66, s[8:9]                  // 000000005FF0: DD388000 00084252
	s_mov_b64 exec, s[36:37]                                   // 000000005FF8: BEFE0124
	s_mov_b64 exec, s[22:23]                                   // 000000005FFC: BEFE0116
	global_atomic_pk_add_f16 v82, v67, s[8:9] offset:256       // 000000006000: DD388100 00084352
	s_mov_b64 exec, s[36:37]                                   // 000000006008: BEFE0124
	s_mov_b64 exec, s[24:25]                                   // 00000000600C: BEFE0118
	global_atomic_pk_add_f16 v84, v68, s[8:9]                  // 000000006010: DD388000 00084454
	s_mov_b64 exec, s[36:37]                                   // 000000006018: BEFE0124
	s_mov_b64 exec, s[24:25]                                   // 00000000601C: BEFE0118
	global_atomic_pk_add_f16 v84, v69, s[8:9] offset:256       // 000000006020: DD388100 00084554
	s_mov_b64 exec, s[36:37]                                   // 000000006028: BEFE0124
	s_mov_b64 exec, s[26:27]                                   // 00000000602C: BEFE011A
	global_atomic_pk_add_f16 v86, v70, s[8:9]                  // 000000006030: DD388000 00084656
	s_mov_b64 exec, s[36:37]                                   // 000000006038: BEFE0124
	s_mov_b64 exec, s[26:27]                                   // 00000000603C: BEFE011A
	global_atomic_pk_add_f16 v86, v71, s[8:9] offset:256       // 000000006040: DD388100 00084756
	s_mov_b64 exec, s[36:37]                                   // 000000006048: BEFE0124
	s_mov_b64 exec, s[28:29]                                   // 00000000604C: BEFE011C
	global_atomic_pk_add_f16 v88, v72, s[8:9]                  // 000000006050: DD388000 00084858
	s_mov_b64 exec, s[36:37]                                   // 000000006058: BEFE0124
	s_mov_b64 exec, s[28:29]                                   // 00000000605C: BEFE011C
	global_atomic_pk_add_f16 v88, v73, s[8:9] offset:256       // 000000006060: DD388100 00084958
	s_mov_b64 exec, s[36:37]                                   // 000000006068: BEFE0124
	s_mov_b64 exec, s[30:31]                                   // 00000000606C: BEFE011E
	global_atomic_pk_add_f16 v90, v74, s[8:9]                  // 000000006070: DD388000 00084A5A
	s_mov_b64 exec, s[36:37]                                   // 000000006078: BEFE0124
	s_mov_b64 exec, s[30:31]                                   // 00000000607C: BEFE011E
	global_atomic_pk_add_f16 v90, v75, s[8:9] offset:256       // 000000006080: DD388100 00084B5A
	s_mov_b64 exec, s[36:37]                                   // 000000006088: BEFE0124
	s_mov_b64 exec, s[32:33]                                   // 00000000608C: BEFE0120
	global_atomic_pk_add_f16 v92, v76, s[8:9]                  // 000000006090: DD388000 00084C5C
	s_mov_b64 exec, s[36:37]                                   // 000000006098: BEFE0124
	s_mov_b64 exec, s[32:33]                                   // 00000000609C: BEFE0120
	global_atomic_pk_add_f16 v92, v77, s[8:9] offset:256       // 0000000060A0: DD388100 00084D5C
	s_mov_b64 exec, s[36:37]                                   // 0000000060A8: BEFE0124
	s_mov_b64 exec, s[34:35]                                   // 0000000060AC: BEFE0122
	global_atomic_pk_add_f16 v94, v78, s[8:9]                  // 0000000060B0: DD388000 00084E5E
	s_mov_b64 exec, s[36:37]                                   // 0000000060B8: BEFE0124
	s_mov_b64 exec, s[34:35]                                   // 0000000060BC: BEFE0122
	global_atomic_pk_add_f16 v94, v79, s[8:9] offset:256       // 0000000060C0: DD388100 00084F5E
	s_mov_b64 exec, s[36:37]                                   // 0000000060C8: BEFE0124
	s_add_u32 s8, s59, s8                                      // 0000000060CC: 8008083B
	s_addc_u32 s9, 0, s9                                       // 0000000060D0: 82090980
	s_addk_i32 s80, 0x100                                      // 0000000060D4: B7500100
	s_cmp_lt_i32 s80, s81                                      // 0000000060D8: BF045150
	s_cbranch_scc0 label_0F29                                  // 0000000060DC: BF840271
	s_waitcnt vmcnt(41)                                        // 0000000060E0: BF8C8F79
	s_barrier                                                  // 0000000060E4: BF8A0000
	v_mfma_i32_16x16x32_i8 v[216:219], a[112:113], v[128:129], 0// 0000000060E8: D3D700D8 0A030170
	v_mfma_i32_16x16x32_i8 v[216:219], a[114:115], v[130:131], v[216:219]// 0000000060F0: D3D700D8 0F630572
	buffer_load_dwordx4 a[0:3], v41, s[12:15], 0 offen         // 0000000060F8: E05C1000 80830029
	v_mfma_i32_16x16x32_i8 v[220:223], a[112:113], v[156:157], 0// 000000006100: D3D700DC 0A033970
	v_mfma_i32_16x16x32_i8 v[220:223], a[114:115], v[158:159], v[220:223]// 000000006108: D3D700DC 0F733D72
	v_mfma_i32_16x16x32_i8 v[224:227], a[116:117], v[128:129], 0// 000000006110: D3D700E0 0A030174
	v_mfma_i32_16x16x32_i8 v[224:227], a[118:119], v[130:131], v[224:227]// 000000006118: D3D700E0 0F830576
	buffer_load_dwordx4 a[4:7], v42, s[12:15], 0 offen         // 000000006120: E05C1000 8083042A
	v_mfma_i32_16x16x32_i8 v[228:231], a[116:117], v[156:157], 0// 000000006128: D3D700E4 0A033974
	v_mfma_i32_16x16x32_i8 v[228:231], a[118:119], v[158:159], v[228:231]// 000000006130: D3D700E4 0F933D76
	v_mfma_i32_16x16x32_i8 v[232:235], a[120:121], v[128:129], 0// 000000006138: D3D700E8 0A030178
	v_mfma_i32_16x16x32_i8 v[232:235], a[122:123], v[130:131], v[232:235]// 000000006140: D3D700E8 0FA3057A
	buffer_load_dwordx4 a[8:11], v43, s[12:15], 0 offen        // 000000006148: E05C1000 8083082B
	v_mfma_i32_16x16x32_i8 v[236:239], a[120:121], v[156:157], 0// 000000006150: D3D700EC 0A033978
	v_mfma_i32_16x16x32_i8 v[236:239], a[122:123], v[158:159], v[236:239]// 000000006158: D3D700EC 0FB33D7A
	v_mfma_i32_16x16x32_i8 v[240:243], a[124:125], v[128:129], 0// 000000006160: D3D700F0 0A03017C
	v_mfma_i32_16x16x32_i8 v[240:243], a[126:127], v[130:131], v[240:243]// 000000006168: D3D700F0 0FC3057E
	buffer_load_dwordx4 a[12:15], v44, s[12:15], 0 offen       // 000000006170: E05C1000 80830C2C
	s_add_u32 s12, s78, s12                                    // 000000006178: 800C0C4E
	s_addc_u32 s13, 0, s13                                     // 00000000617C: 820D0D80
	v_mfma_i32_16x16x32_i8 v[244:247], a[124:125], v[156:157], 0// 000000006180: D3D700F4 0A03397C
	v_mfma_i32_16x16x32_i8 v[244:247], a[126:127], v[158:159], v[244:247]// 000000006188: D3D700F4 0FD33D7E
	s_waitcnt vmcnt(41)                                        // 000000006190: BF8C8F79
	v_mfma_i32_16x16x32_i8 v[216:219], a[128:129], v[132:133], v[216:219]// 000000006194: D3D700D8 0F630980
	v_mfma_i32_16x16x32_i8 v[216:219], a[130:131], v[134:135], v[216:219]// 00000000619C: D3D700D8 0F630D82
	buffer_load_dwordx4 a[16:19], v41, s[12:15], 0 offen       // 0000000061A4: E05C1000 80831029
	v_mfma_i32_16x16x32_i8 v[220:223], a[128:129], v[160:161], v[220:223]// 0000000061AC: D3D700DC 0F734180
	v_mfma_i32_16x16x32_i8 v[220:223], a[130:131], v[162:163], v[220:223]// 0000000061B4: D3D700DC 0F734582
	v_mfma_i32_16x16x32_i8 v[224:227], a[132:133], v[132:133], v[224:227]// 0000000061BC: D3D700E0 0F830984
	v_mfma_i32_16x16x32_i8 v[224:227], a[134:135], v[134:135], v[224:227]// 0000000061C4: D3D700E0 0F830D86
	buffer_load_dwordx4 a[20:23], v42, s[12:15], 0 offen       // 0000000061CC: E05C1000 8083142A
	v_mfma_i32_16x16x32_i8 v[228:231], a[132:133], v[160:161], v[228:231]// 0000000061D4: D3D700E4 0F934184
	v_mfma_i32_16x16x32_i8 v[228:231], a[134:135], v[162:163], v[228:231]// 0000000061DC: D3D700E4 0F934586
	v_mfma_i32_16x16x32_i8 v[232:235], a[136:137], v[132:133], v[232:235]// 0000000061E4: D3D700E8 0FA30988
	v_mfma_i32_16x16x32_i8 v[232:235], a[138:139], v[134:135], v[232:235]// 0000000061EC: D3D700E8 0FA30D8A
	buffer_load_dwordx4 a[24:27], v43, s[12:15], 0 offen       // 0000000061F4: E05C1000 8083182B
	v_mfma_i32_16x16x32_i8 v[236:239], a[136:137], v[160:161], v[236:239]// 0000000061FC: D3D700EC 0FB34188
	v_mfma_i32_16x16x32_i8 v[236:239], a[138:139], v[162:163], v[236:239]// 000000006204: D3D700EC 0FB3458A
	v_mfma_i32_16x16x32_i8 v[240:243], a[140:141], v[132:133], v[240:243]// 00000000620C: D3D700F0 0FC3098C
	v_mfma_i32_16x16x32_i8 v[240:243], a[142:143], v[134:135], v[240:243]// 000000006214: D3D700F0 0FC30D8E
	buffer_load_dwordx4 a[28:31], v44, s[12:15], 0 offen       // 00000000621C: E05C1000 80831C2C
	s_add_u32 s12, s78, s12                                    // 000000006224: 800C0C4E
	s_addc_u32 s13, 0, s13                                     // 000000006228: 820D0D80
	v_mfma_i32_16x16x32_i8 v[244:247], a[140:141], v[160:161], v[244:247]// 00000000622C: D3D700F4 0FD3418C
	v_mfma_i32_16x16x32_i8 v[244:247], a[142:143], v[162:163], v[244:247]// 000000006234: D3D700F4 0FD3458E
	s_waitcnt vmcnt(41)                                        // 00000000623C: BF8C8F79
	v_mfma_i32_16x16x32_i8 v[216:219], a[144:145], v[136:137], v[216:219]// 000000006240: D3D700D8 0F631190
	v_mfma_i32_16x16x32_i8 v[216:219], a[146:147], v[138:139], v[216:219]// 000000006248: D3D700D8 0F631592
	buffer_load_dwordx4 a[32:35], v41, s[12:15], 0 offen       // 000000006250: E05C1000 80832029
	v_mfma_i32_16x16x32_i8 v[220:223], a[144:145], v[164:165], v[220:223]// 000000006258: D3D700DC 0F734990
	v_mfma_i32_16x16x32_i8 v[220:223], a[146:147], v[166:167], v[220:223]// 000000006260: D3D700DC 0F734D92
	v_mfma_i32_16x16x32_i8 v[224:227], a[148:149], v[136:137], v[224:227]// 000000006268: D3D700E0 0F831194
	v_mfma_i32_16x16x32_i8 v[224:227], a[150:151], v[138:139], v[224:227]// 000000006270: D3D700E0 0F831596
	buffer_load_dwordx4 a[36:39], v42, s[12:15], 0 offen       // 000000006278: E05C1000 8083242A
	v_mfma_i32_16x16x32_i8 v[228:231], a[148:149], v[164:165], v[228:231]// 000000006280: D3D700E4 0F934994
	v_mfma_i32_16x16x32_i8 v[228:231], a[150:151], v[166:167], v[228:231]// 000000006288: D3D700E4 0F934D96
	v_mfma_i32_16x16x32_i8 v[232:235], a[152:153], v[136:137], v[232:235]// 000000006290: D3D700E8 0FA31198
	v_mfma_i32_16x16x32_i8 v[232:235], a[154:155], v[138:139], v[232:235]// 000000006298: D3D700E8 0FA3159A
	buffer_load_dwordx4 a[40:43], v43, s[12:15], 0 offen       // 0000000062A0: E05C1000 8083282B
	v_mfma_i32_16x16x32_i8 v[236:239], a[152:153], v[164:165], v[236:239]// 0000000062A8: D3D700EC 0FB34998
	v_mfma_i32_16x16x32_i8 v[236:239], a[154:155], v[166:167], v[236:239]// 0000000062B0: D3D700EC 0FB34D9A
	v_mfma_i32_16x16x32_i8 v[240:243], a[156:157], v[136:137], v[240:243]// 0000000062B8: D3D700F0 0FC3119C
	v_mfma_i32_16x16x32_i8 v[240:243], a[158:159], v[138:139], v[240:243]// 0000000062C0: D3D700F0 0FC3159E
	buffer_load_dwordx4 a[44:47], v44, s[12:15], 0 offen       // 0000000062C8: E05C1000 80832C2C
	s_add_u32 s12, s78, s12                                    // 0000000062D0: 800C0C4E
	s_addc_u32 s13, 0, s13                                     // 0000000062D4: 820D0D80
	v_mfma_i32_16x16x32_i8 v[244:247], a[156:157], v[164:165], v[244:247]// 0000000062D8: D3D700F4 0FD3499C
	v_mfma_i32_16x16x32_i8 v[244:247], a[158:159], v[166:167], v[244:247]// 0000000062E0: D3D700F4 0FD34D9E
	s_waitcnt vmcnt(41)                                        // 0000000062E8: BF8C8F79
	v_mfma_i32_16x16x32_i8 v[216:219], a[160:161], v[140:141], v[216:219]// 0000000062EC: D3D700D8 0F6319A0
	v_mfma_i32_16x16x32_i8 v[216:219], a[162:163], v[142:143], v[216:219]// 0000000062F4: D3D700D8 0F631DA2
	buffer_load_dwordx4 a[48:51], v41, s[12:15], 0 offen       // 0000000062FC: E05C1000 80833029
	v_mfma_i32_16x16x32_i8 v[220:223], a[160:161], v[168:169], v[220:223]// 000000006304: D3D700DC 0F7351A0
	v_mfma_i32_16x16x32_i8 v[220:223], a[162:163], v[170:171], v[220:223]// 00000000630C: D3D700DC 0F7355A2
	v_mfma_i32_16x16x32_i8 v[224:227], a[164:165], v[140:141], v[224:227]// 000000006314: D3D700E0 0F8319A4
	v_mfma_i32_16x16x32_i8 v[224:227], a[166:167], v[142:143], v[224:227]// 00000000631C: D3D700E0 0F831DA6
	buffer_load_dwordx4 a[52:55], v42, s[12:15], 0 offen       // 000000006324: E05C1000 8083342A
	v_mfma_i32_16x16x32_i8 v[228:231], a[164:165], v[168:169], v[228:231]// 00000000632C: D3D700E4 0F9351A4
	v_mfma_i32_16x16x32_i8 v[228:231], a[166:167], v[170:171], v[228:231]// 000000006334: D3D700E4 0F9355A6
	v_mfma_i32_16x16x32_i8 v[232:235], a[168:169], v[140:141], v[232:235]// 00000000633C: D3D700E8 0FA319A8
	v_mfma_i32_16x16x32_i8 v[232:235], a[170:171], v[142:143], v[232:235]// 000000006344: D3D700E8 0FA31DAA
	buffer_load_dwordx4 a[56:59], v43, s[12:15], 0 offen       // 00000000634C: E05C1000 8083382B
	v_mfma_i32_16x16x32_i8 v[236:239], a[168:169], v[168:169], v[236:239]// 000000006354: D3D700EC 0FB351A8
	v_mfma_i32_16x16x32_i8 v[236:239], a[170:171], v[170:171], v[236:239]// 00000000635C: D3D700EC 0FB355AA
	v_mfma_i32_16x16x32_i8 v[240:243], a[172:173], v[140:141], v[240:243]// 000000006364: D3D700F0 0FC319AC
	v_mfma_i32_16x16x32_i8 v[240:243], a[174:175], v[142:143], v[240:243]// 00000000636C: D3D700F0 0FC31DAE
	buffer_load_dwordx4 a[60:63], v44, s[12:15], 0 offen       // 000000006374: E05C1000 80833C2C
	s_add_u32 s12, s78, s12                                    // 00000000637C: 800C0C4E
	s_addc_u32 s13, 0, s13                                     // 000000006380: 820D0D80
	v_mfma_i32_16x16x32_i8 v[244:247], a[172:173], v[168:169], v[244:247]// 000000006384: D3D700F4 0FD351AC
	v_mfma_i32_16x16x32_i8 v[244:247], a[174:175], v[170:171], v[244:247]// 00000000638C: D3D700F4 0FD355AE
	s_waitcnt vmcnt(41)                                        // 000000006394: BF8C8F79
	v_mfma_i32_16x16x32_i8 v[216:219], a[176:177], v[144:145], v[216:219]// 000000006398: D3D700D8 0F6321B0
	v_mfma_i32_16x16x32_i8 v[216:219], a[178:179], v[146:147], v[216:219]// 0000000063A0: D3D700D8 0F6325B2
	buffer_load_dwordx4 a[64:67], v41, s[12:15], 0 offen       // 0000000063A8: E05C1000 80834029
	v_mfma_i32_16x16x32_i8 v[220:223], a[176:177], v[172:173], v[220:223]// 0000000063B0: D3D700DC 0F7359B0
	v_mfma_i32_16x16x32_i8 v[220:223], a[178:179], v[174:175], v[220:223]// 0000000063B8: D3D700DC 0F735DB2
	v_mfma_i32_16x16x32_i8 v[224:227], a[180:181], v[144:145], v[224:227]// 0000000063C0: D3D700E0 0F8321B4
	v_mfma_i32_16x16x32_i8 v[224:227], a[182:183], v[146:147], v[224:227]// 0000000063C8: D3D700E0 0F8325B6
	buffer_load_dwordx4 a[68:71], v42, s[12:15], 0 offen       // 0000000063D0: E05C1000 8083442A
	v_mfma_i32_16x16x32_i8 v[228:231], a[180:181], v[172:173], v[228:231]// 0000000063D8: D3D700E4 0F9359B4
	v_mfma_i32_16x16x32_i8 v[228:231], a[182:183], v[174:175], v[228:231]// 0000000063E0: D3D700E4 0F935DB6
	v_mfma_i32_16x16x32_i8 v[232:235], a[184:185], v[144:145], v[232:235]// 0000000063E8: D3D700E8 0FA321B8
	v_mfma_i32_16x16x32_i8 v[232:235], a[186:187], v[146:147], v[232:235]// 0000000063F0: D3D700E8 0FA325BA
	buffer_load_dwordx4 a[72:75], v43, s[12:15], 0 offen       // 0000000063F8: E05C1000 8083482B
	v_mfma_i32_16x16x32_i8 v[236:239], a[184:185], v[172:173], v[236:239]// 000000006400: D3D700EC 0FB359B8
	v_mfma_i32_16x16x32_i8 v[236:239], a[186:187], v[174:175], v[236:239]// 000000006408: D3D700EC 0FB35DBA
	v_mfma_i32_16x16x32_i8 v[240:243], a[188:189], v[144:145], v[240:243]// 000000006410: D3D700F0 0FC321BC
	v_mfma_i32_16x16x32_i8 v[240:243], a[190:191], v[146:147], v[240:243]// 000000006418: D3D700F0 0FC325BE
	buffer_load_dwordx4 a[76:79], v44, s[12:15], 0 offen       // 000000006420: E05C1000 80834C2C
	s_add_u32 s12, s78, s12                                    // 000000006428: 800C0C4E
	s_addc_u32 s13, 0, s13                                     // 00000000642C: 820D0D80
	v_mfma_i32_16x16x32_i8 v[244:247], a[188:189], v[172:173], v[244:247]// 000000006430: D3D700F4 0FD359BC
	v_mfma_i32_16x16x32_i8 v[244:247], a[190:191], v[174:175], v[244:247]// 000000006438: D3D700F4 0FD35DBE
	s_waitcnt vmcnt(41)                                        // 000000006440: BF8C8F79
	v_mfma_i32_16x16x32_i8 v[216:219], a[192:193], v[148:149], v[216:219]// 000000006444: D3D700D8 0F6329C0
	v_mfma_i32_16x16x32_i8 v[216:219], a[194:195], v[150:151], v[216:219]// 00000000644C: D3D700D8 0F632DC2
	buffer_load_dwordx4 a[80:83], v41, s[12:15], 0 offen       // 000000006454: E05C1000 80835029
	v_mfma_i32_16x16x32_i8 v[220:223], a[192:193], v[176:177], v[220:223]// 00000000645C: D3D700DC 0F7361C0
	v_mfma_i32_16x16x32_i8 v[220:223], a[194:195], v[178:179], v[220:223]// 000000006464: D3D700DC 0F7365C2
	v_mfma_i32_16x16x32_i8 v[224:227], a[196:197], v[148:149], v[224:227]// 00000000646C: D3D700E0 0F8329C4
	v_mfma_i32_16x16x32_i8 v[224:227], a[198:199], v[150:151], v[224:227]// 000000006474: D3D700E0 0F832DC6
	buffer_load_dwordx4 a[84:87], v42, s[12:15], 0 offen       // 00000000647C: E05C1000 8083542A
	v_mfma_i32_16x16x32_i8 v[228:231], a[196:197], v[176:177], v[228:231]// 000000006484: D3D700E4 0F9361C4
	v_mfma_i32_16x16x32_i8 v[228:231], a[198:199], v[178:179], v[228:231]// 00000000648C: D3D700E4 0F9365C6
	v_mfma_i32_16x16x32_i8 v[232:235], a[200:201], v[148:149], v[232:235]// 000000006494: D3D700E8 0FA329C8
	v_mfma_i32_16x16x32_i8 v[232:235], a[202:203], v[150:151], v[232:235]// 00000000649C: D3D700E8 0FA32DCA
	buffer_load_dwordx4 a[88:91], v43, s[12:15], 0 offen       // 0000000064A4: E05C1000 8083582B
	v_mfma_i32_16x16x32_i8 v[236:239], a[200:201], v[176:177], v[236:239]// 0000000064AC: D3D700EC 0FB361C8
	v_mfma_i32_16x16x32_i8 v[236:239], a[202:203], v[178:179], v[236:239]// 0000000064B4: D3D700EC 0FB365CA
	v_mfma_i32_16x16x32_i8 v[240:243], a[204:205], v[148:149], v[240:243]// 0000000064BC: D3D700F0 0FC329CC
	v_mfma_i32_16x16x32_i8 v[240:243], a[206:207], v[150:151], v[240:243]// 0000000064C4: D3D700F0 0FC32DCE
	buffer_load_dwordx4 a[92:95], v44, s[12:15], 0 offen       // 0000000064CC: E05C1000 80835C2C
	s_add_u32 s12, s78, s12                                    // 0000000064D4: 800C0C4E
	s_addc_u32 s13, 0, s13                                     // 0000000064D8: 820D0D80
	v_mfma_i32_16x16x32_i8 v[244:247], a[204:205], v[176:177], v[244:247]// 0000000064DC: D3D700F4 0FD361CC
	v_mfma_i32_16x16x32_i8 v[244:247], a[206:207], v[178:179], v[244:247]// 0000000064E4: D3D700F4 0FD365CE
	s_waitcnt vmcnt(40)                                        // 0000000064EC: BF8C8F78
	v_mfma_i32_16x16x32_i8 v[216:219], a[208:209], v[152:153], v[216:219]// 0000000064F0: D3D700D8 0F6331D0
	v_mfma_i32_16x16x32_i8 v[216:219], a[210:211], v[154:155], v[216:219]// 0000000064F8: D3D700D8 0F6335D2
	buffer_load_dwordx4 a[96:99], v41, s[12:15], 0 offen       // 000000006500: E05C1000 80836029
	v_mfma_i32_16x16x32_i8 v[220:223], a[208:209], v[180:181], v[220:223]// 000000006508: D3D700DC 0F7369D0
	v_mfma_i32_16x16x32_i8 v[220:223], a[210:211], v[182:183], v[220:223]// 000000006510: D3D700DC 0F736DD2
	buffer_load_dword v12, v5, s[16:19], 0 offen               // 000000006518: E0501000 80040C05
	v_mfma_i32_16x16x32_i8 v[224:227], a[212:213], v[152:153], v[224:227]// 000000006520: D3D700E0 0F8331D4
	v_mfma_i32_16x16x32_i8 v[224:227], a[214:215], v[154:155], v[224:227]// 000000006528: D3D700E0 0F8335D6
	buffer_load_dwordx4 a[100:103], v42, s[12:15], 0 offen     // 000000006530: E05C1000 8083642A
	v_mfma_i32_16x16x32_i8 v[228:231], a[212:213], v[180:181], v[228:231]// 000000006538: D3D700E4 0F9369D4
	v_mfma_i32_16x16x32_i8 v[228:231], a[214:215], v[182:183], v[228:231]// 000000006540: D3D700E4 0F936DD6
	v_mfma_i32_16x16x32_i8 v[232:235], a[216:217], v[152:153], v[232:235]// 000000006548: D3D700E8 0FA331D8
	v_mfma_i32_16x16x32_i8 v[232:235], a[218:219], v[154:155], v[232:235]// 000000006550: D3D700E8 0FA335DA
	buffer_load_dwordx4 a[104:107], v43, s[12:15], 0 offen     // 000000006558: E05C1000 8083682B
	v_mfma_i32_16x16x32_i8 v[236:239], a[216:217], v[180:181], v[236:239]// 000000006560: D3D700EC 0FB369D8
	v_mfma_i32_16x16x32_i8 v[236:239], a[218:219], v[182:183], v[236:239]// 000000006568: D3D700EC 0FB36DDA
	v_mfma_i32_16x16x32_i8 v[240:243], a[220:221], v[152:153], v[240:243]// 000000006570: D3D700F0 0FC331DC
	v_mfma_i32_16x16x32_i8 v[240:243], a[222:223], v[154:155], v[240:243]// 000000006578: D3D700F0 0FC335DE
	buffer_load_dwordx4 a[108:111], v44, s[12:15], 0 offen     // 000000006580: E05C1000 80836C2C
	v_mfma_i32_16x16x32_i8 v[244:247], a[220:221], v[180:181], v[244:247]// 000000006588: D3D700F4 0FD369DC
	v_mfma_i32_16x16x32_i8 v[244:247], a[222:223], v[182:183], v[244:247]// 000000006590: D3D700F4 0FD36DDE
	s_add_u32 s60, 0x200, s80                                  // 000000006598: 803C50FF 00000200
	s_cmp_lt_u32 s60, s81                                      // 0000000065A0: BF0A513C
	s_cselect_b32 s56, s56, 0                                  // 0000000065A4: 85388038
	s_cselect_b32 s78, s78, 0                                  // 0000000065A8: 854E804E
	s_cselect_b32 s79, s79, 0                                  // 0000000065AC: 854F804F
	s_add_u32 s12, s56, s12                                    // 0000000065B0: 800C0C38
	s_addc_u32 s13, 0, s13                                     // 0000000065B4: 820D0D80
	s_add_u32 s16, s79, s16                                    // 0000000065B8: 8010104F
	s_addc_u32 s17, 0, s17                                     // 0000000065BC: 82111180
	v_cvt_f32_i32_e32 v216, v216                               // 0000000065C0: 7FB00BD8
	v_cvt_f32_i32_e32 v217, v217                               // 0000000065C4: 7FB20BD9
	v_cvt_f32_i32_e32 v218, v218                               // 0000000065C8: 7FB40BDA
	v_cvt_f32_i32_e32 v219, v219                               // 0000000065CC: 7FB60BDB
	v_mul_f32_e32 v216, v24, v216                              // 0000000065D0: 0BB1B118
	v_mul_f32_e32 v217, v24, v217                              // 0000000065D4: 0BB3B318
	v_mul_f32_e32 v218, v24, v218                              // 0000000065D8: 0BB5B518
	v_mul_f32_e32 v219, v24, v219                              // 0000000065DC: 0BB7B718
	v_mul_f32_dpp v216, v13, v216 row_newbcast:0 row_mask:0xf bank_mask:0xf// 0000000065E0: 0BB1B0FA FF01500D
	v_mul_f32_dpp v217, v13, v217 row_newbcast:1 row_mask:0xf bank_mask:0xf// 0000000065E8: 0BB3B2FA FF01510D
	v_mul_f32_dpp v218, v13, v218 row_newbcast:2 row_mask:0xf bank_mask:0xf// 0000000065F0: 0BB5B4FA FF01520D
	v_mul_f32_dpp v219, v13, v219 row_newbcast:3 row_mask:0xf bank_mask:0xf// 0000000065F8: 0BB7B6FA FF01530D
	v_mul_f32_e32 v216, v20, v216                              // 000000006600: 0BB1B114
	v_mul_f32_e32 v217, v20, v217                              // 000000006604: 0BB3B314
	v_mul_f32_e32 v218, v20, v218                              // 000000006608: 0BB5B514
	v_mul_f32_e32 v219, v20, v219                              // 00000000660C: 0BB7B714
	v_cvt_f32_i32_e32 v220, v220                               // 000000006610: 7FB80BDC
	v_cvt_f32_i32_e32 v221, v221                               // 000000006614: 7FBA0BDD
	v_cvt_f32_i32_e32 v222, v222                               // 000000006618: 7FBC0BDE
	v_cvt_f32_i32_e32 v223, v223                               // 00000000661C: 7FBE0BDF
	v_mul_f32_e32 v220, v25, v220                              // 000000006620: 0BB9B919
	v_mul_f32_e32 v221, v25, v221                              // 000000006624: 0BBBBB19
	v_mul_f32_e32 v222, v25, v222                              // 000000006628: 0BBDBD19
	v_mul_f32_e32 v223, v25, v223                              // 00000000662C: 0BBFBF19
	v_mul_f32_dpp v220, v13, v220 row_newbcast:0 row_mask:0xf bank_mask:0xf// 000000006630: 0BB9B8FA FF01500D
	v_mul_f32_dpp v221, v13, v221 row_newbcast:1 row_mask:0xf bank_mask:0xf// 000000006638: 0BBBBAFA FF01510D
	v_mul_f32_dpp v222, v13, v222 row_newbcast:2 row_mask:0xf bank_mask:0xf// 000000006640: 0BBDBCFA FF01520D
	v_mul_f32_dpp v223, v13, v223 row_newbcast:3 row_mask:0xf bank_mask:0xf// 000000006648: 0BBFBEFA FF01530D
	v_mul_f32_e32 v220, v21, v220                              // 000000006650: 0BB9B915
	v_mul_f32_e32 v221, v21, v221                              // 000000006654: 0BBBBB15
	v_mul_f32_e32 v222, v21, v222                              // 000000006658: 0BBDBD15
	v_mul_f32_e32 v223, v21, v223                              // 00000000665C: 0BBFBF15
	v_cvt_f32_i32_e32 v224, v224                               // 000000006660: 7FC00BE0
	v_cvt_f32_i32_e32 v225, v225                               // 000000006664: 7FC20BE1
	v_cvt_f32_i32_e32 v226, v226                               // 000000006668: 7FC40BE2
	v_cvt_f32_i32_e32 v227, v227                               // 00000000666C: 7FC60BE3
	v_mul_f32_e32 v224, v24, v224                              // 000000006670: 0BC1C118
	v_mul_f32_e32 v225, v24, v225                              // 000000006674: 0BC3C318
	v_mul_f32_e32 v226, v24, v226                              // 000000006678: 0BC5C518
	v_mul_f32_e32 v227, v24, v227                              // 00000000667C: 0BC7C718
	v_mul_f32_dpp v224, v13, v224 row_newbcast:4 row_mask:0xf bank_mask:0xf// 000000006680: 0BC1C0FA FF01540D
	v_mul_f32_dpp v225, v13, v225 row_newbcast:5 row_mask:0xf bank_mask:0xf// 000000006688: 0BC3C2FA FF01550D
	v_mul_f32_dpp v226, v13, v226 row_newbcast:6 row_mask:0xf bank_mask:0xf// 000000006690: 0BC5C4FA FF01560D
	v_mul_f32_dpp v227, v13, v227 row_newbcast:7 row_mask:0xf bank_mask:0xf// 000000006698: 0BC7C6FA FF01570D
	v_mul_f32_e32 v224, v20, v224                              // 0000000066A0: 0BC1C114
	v_mul_f32_e32 v225, v20, v225                              // 0000000066A4: 0BC3C314
	v_mul_f32_e32 v226, v20, v226                              // 0000000066A8: 0BC5C514
	v_mul_f32_e32 v227, v20, v227                              // 0000000066AC: 0BC7C714
	v_cvt_f32_i32_e32 v228, v228                               // 0000000066B0: 7FC80BE4
	v_cvt_f32_i32_e32 v229, v229                               // 0000000066B4: 7FCA0BE5
	v_cvt_f32_i32_e32 v230, v230                               // 0000000066B8: 7FCC0BE6
	v_cvt_f32_i32_e32 v231, v231                               // 0000000066BC: 7FCE0BE7
	v_mul_f32_e32 v228, v25, v228                              // 0000000066C0: 0BC9C919
	v_mul_f32_e32 v229, v25, v229                              // 0000000066C4: 0BCBCB19
	v_mul_f32_e32 v230, v25, v230                              // 0000000066C8: 0BCDCD19
	v_mul_f32_e32 v231, v25, v231                              // 0000000066CC: 0BCFCF19
	v_mul_f32_dpp v228, v13, v228 row_newbcast:4 row_mask:0xf bank_mask:0xf// 0000000066D0: 0BC9C8FA FF01540D
	v_mul_f32_dpp v229, v13, v229 row_newbcast:5 row_mask:0xf bank_mask:0xf// 0000000066D8: 0BCBCAFA FF01550D
	v_mul_f32_dpp v230, v13, v230 row_newbcast:6 row_mask:0xf bank_mask:0xf// 0000000066E0: 0BCDCCFA FF01560D
	v_mul_f32_dpp v231, v13, v231 row_newbcast:7 row_mask:0xf bank_mask:0xf// 0000000066E8: 0BCFCEFA FF01570D
	v_mul_f32_e32 v228, v21, v228                              // 0000000066F0: 0BC9C915
	v_mul_f32_e32 v229, v21, v229                              // 0000000066F4: 0BCBCB15
	v_mul_f32_e32 v230, v21, v230                              // 0000000066F8: 0BCDCD15
	v_mul_f32_e32 v231, v21, v231                              // 0000000066FC: 0BCFCF15
	v_cvt_f32_i32_e32 v232, v232                               // 000000006700: 7FD00BE8
	v_cvt_f32_i32_e32 v233, v233                               // 000000006704: 7FD20BE9
	v_cvt_f32_i32_e32 v234, v234                               // 000000006708: 7FD40BEA
	v_cvt_f32_i32_e32 v235, v235                               // 00000000670C: 7FD60BEB
	v_mul_f32_e32 v232, v24, v232                              // 000000006710: 0BD1D118
	v_mul_f32_e32 v233, v24, v233                              // 000000006714: 0BD3D318
	v_mul_f32_e32 v234, v24, v234                              // 000000006718: 0BD5D518
	v_mul_f32_e32 v235, v24, v235                              // 00000000671C: 0BD7D718
	v_mul_f32_dpp v232, v13, v232 row_newbcast:8 row_mask:0xf bank_mask:0xf// 000000006720: 0BD1D0FA FF01580D
	v_mul_f32_dpp v233, v13, v233 row_newbcast:9 row_mask:0xf bank_mask:0xf// 000000006728: 0BD3D2FA FF01590D
	v_mul_f32_dpp v234, v13, v234 row_newbcast:10 row_mask:0xf bank_mask:0xf// 000000006730: 0BD5D4FA FF015A0D
	v_mul_f32_dpp v235, v13, v235 row_newbcast:11 row_mask:0xf bank_mask:0xf// 000000006738: 0BD7D6FA FF015B0D
	v_mul_f32_e32 v232, v20, v232                              // 000000006740: 0BD1D114
	v_mul_f32_e32 v233, v20, v233                              // 000000006744: 0BD3D314
	v_mul_f32_e32 v234, v20, v234                              // 000000006748: 0BD5D514
	v_mul_f32_e32 v235, v20, v235                              // 00000000674C: 0BD7D714
	v_cvt_f32_i32_e32 v236, v236                               // 000000006750: 7FD80BEC
	v_cvt_f32_i32_e32 v237, v237                               // 000000006754: 7FDA0BED
	v_cvt_f32_i32_e32 v238, v238                               // 000000006758: 7FDC0BEE
	v_cvt_f32_i32_e32 v239, v239                               // 00000000675C: 7FDE0BEF
	v_mul_f32_e32 v236, v25, v236                              // 000000006760: 0BD9D919
	v_mul_f32_e32 v237, v25, v237                              // 000000006764: 0BDBDB19
	v_mul_f32_e32 v238, v25, v238                              // 000000006768: 0BDDDD19
	v_mul_f32_e32 v239, v25, v239                              // 00000000676C: 0BDFDF19
	v_mul_f32_dpp v236, v13, v236 row_newbcast:8 row_mask:0xf bank_mask:0xf// 000000006770: 0BD9D8FA FF01580D
	v_mul_f32_dpp v237, v13, v237 row_newbcast:9 row_mask:0xf bank_mask:0xf// 000000006778: 0BDBDAFA FF01590D
	v_mul_f32_dpp v238, v13, v238 row_newbcast:10 row_mask:0xf bank_mask:0xf// 000000006780: 0BDDDCFA FF015A0D
	v_mul_f32_dpp v239, v13, v239 row_newbcast:11 row_mask:0xf bank_mask:0xf// 000000006788: 0BDFDEFA FF015B0D
	v_mul_f32_e32 v236, v21, v236                              // 000000006790: 0BD9D915
	v_mul_f32_e32 v237, v21, v237                              // 000000006794: 0BDBDB15
	v_mul_f32_e32 v238, v21, v238                              // 000000006798: 0BDDDD15
	v_mul_f32_e32 v239, v21, v239                              // 00000000679C: 0BDFDF15
	v_cvt_f32_i32_e32 v240, v240                               // 0000000067A0: 7FE00BF0
	v_cvt_f32_i32_e32 v241, v241                               // 0000000067A4: 7FE20BF1
	v_cvt_f32_i32_e32 v242, v242                               // 0000000067A8: 7FE40BF2
	v_cvt_f32_i32_e32 v243, v243                               // 0000000067AC: 7FE60BF3
	v_mul_f32_e32 v240, v24, v240                              // 0000000067B0: 0BE1E118
	v_mul_f32_e32 v241, v24, v241                              // 0000000067B4: 0BE3E318
	v_mul_f32_e32 v242, v24, v242                              // 0000000067B8: 0BE5E518
	v_mul_f32_e32 v243, v24, v243                              // 0000000067BC: 0BE7E718
	v_mul_f32_dpp v240, v13, v240 row_newbcast:12 row_mask:0xf bank_mask:0xf// 0000000067C0: 0BE1E0FA FF015C0D
	v_mul_f32_dpp v241, v13, v241 row_newbcast:13 row_mask:0xf bank_mask:0xf// 0000000067C8: 0BE3E2FA FF015D0D
	v_mul_f32_dpp v242, v13, v242 row_newbcast:14 row_mask:0xf bank_mask:0xf// 0000000067D0: 0BE5E4FA FF015E0D
	v_mul_f32_dpp v243, v13, v243 row_newbcast:15 row_mask:0xf bank_mask:0xf// 0000000067D8: 0BE7E6FA FF015F0D
	v_mul_f32_e32 v240, v20, v240                              // 0000000067E0: 0BE1E114
	v_mul_f32_e32 v241, v20, v241                              // 0000000067E4: 0BE3E314
	v_mul_f32_e32 v242, v20, v242                              // 0000000067E8: 0BE5E514
	v_mul_f32_e32 v243, v20, v243                              // 0000000067EC: 0BE7E714
	v_cvt_f32_i32_e32 v244, v244                               // 0000000067F0: 7FE80BF4
	v_cvt_f32_i32_e32 v245, v245                               // 0000000067F4: 7FEA0BF5
	v_cvt_f32_i32_e32 v246, v246                               // 0000000067F8: 7FEC0BF6
	v_cvt_f32_i32_e32 v247, v247                               // 0000000067FC: 7FEE0BF7
	v_mul_f32_e32 v244, v25, v244                              // 000000006800: 0BE9E919
	v_mul_f32_e32 v245, v25, v245                              // 000000006804: 0BEBEB19
	v_mul_f32_e32 v246, v25, v246                              // 000000006808: 0BEDED19
	v_mul_f32_e32 v247, v25, v247                              // 00000000680C: 0BEFEF19
	v_mul_f32_dpp v244, v13, v244 row_newbcast:12 row_mask:0xf bank_mask:0xf// 000000006810: 0BE9E8FA FF015C0D
	v_mul_f32_dpp v245, v13, v245 row_newbcast:13 row_mask:0xf bank_mask:0xf// 000000006818: 0BEBEAFA FF015D0D
	v_mul_f32_dpp v246, v13, v246 row_newbcast:14 row_mask:0xf bank_mask:0xf// 000000006820: 0BEDECFA FF015E0D
	v_mul_f32_dpp v247, v13, v247 row_newbcast:15 row_mask:0xf bank_mask:0xf// 000000006828: 0BEFEEFA FF015F0D
	v_mul_f32_e32 v244, v21, v244                              // 000000006830: 0BE9E915
	v_mul_f32_e32 v245, v21, v245                              // 000000006834: 0BEBEB15
	v_mul_f32_e32 v246, v21, v246                              // 000000006838: 0BEDED15
	v_mul_f32_e32 v247, v21, v247                              // 00000000683C: 0BEFEF15
	v_cvt_pkrtz_f16_f32 v216, v216, v217                       // 000000006840: D29600D8 0003B3D8
	v_cvt_pkrtz_f16_f32 v217, v218, v219                       // 000000006848: D29600D9 0003B7DA
	v_cvt_pkrtz_f16_f32 v218, v220, v221                       // 000000006850: D29600DA 0003BBDC
	v_cvt_pkrtz_f16_f32 v219, v222, v223                       // 000000006858: D29600DB 0003BFDE
	v_cvt_pkrtz_f16_f32 v220, v224, v225                       // 000000006860: D29600DC 0003C3E0
	v_cvt_pkrtz_f16_f32 v221, v226, v227                       // 000000006868: D29600DD 0003C7E2
	v_cvt_pkrtz_f16_f32 v222, v228, v229                       // 000000006870: D29600DE 0003CBE4
	v_cvt_pkrtz_f16_f32 v223, v230, v231                       // 000000006878: D29600DF 0003CFE6
	v_cvt_pkrtz_f16_f32 v224, v232, v233                       // 000000006880: D29600E0 0003D3E8
	v_cvt_pkrtz_f16_f32 v225, v234, v235                       // 000000006888: D29600E1 0003D7EA
	v_cvt_pkrtz_f16_f32 v226, v236, v237                       // 000000006890: D29600E2 0003DBEC
	v_cvt_pkrtz_f16_f32 v227, v238, v239                       // 000000006898: D29600E3 0003DFEE
	v_cvt_pkrtz_f16_f32 v228, v240, v241                       // 0000000068A0: D29600E4 0003E3F0
	v_cvt_pkrtz_f16_f32 v229, v242, v243                       // 0000000068A8: D29600E5 0003E7F2
	v_cvt_pkrtz_f16_f32 v230, v244, v245                       // 0000000068B0: D29600E6 0003EBF4
	v_cvt_pkrtz_f16_f32 v231, v246, v247                       // 0000000068B8: D29600E7 0003EFF6
	ds_write_b64 v3, v[216:217] offset:33024                   // 0000000068C0: D89A8100 0000D803
	ds_write_b64 v3, v[218:219] offset:41728                   // 0000000068C8: D89AA300 0000DA03
	ds_write_b64 v3, v[220:221] offset:35200                   // 0000000068D0: D89A8980 0000DC03
	ds_write_b64 v3, v[222:223] offset:43904                   // 0000000068D8: D89AAB80 0000DE03
	ds_write_b64 v3, v[224:225] offset:37376                   // 0000000068E0: D89A9200 0000E003
	ds_write_b64 v3, v[226:227] offset:46080                   // 0000000068E8: D89AB400 0000E203
	ds_write_b64 v3, v[228:229] offset:39552                   // 0000000068F0: D89A9A80 0000E403
	ds_write_b64 v3, v[230:231] offset:48256                   // 0000000068F8: D89ABC80 0000E603
	s_waitcnt lgkmcnt(0)                                       // 000000006900: BF8CC07F
	s_barrier                                                  // 000000006904: BF8A0000
	ds_read_b32 v64, v4 offset:33024                           // 000000006908: D86C8100 40000004
	ds_read_b32 v65, v4 offset:37376                           // 000000006910: D86C9200 41000004
	ds_read_b32 v66, v4 offset:33056                           // 000000006918: D86C8120 42000004
	ds_read_b32 v67, v4 offset:37408                           // 000000006920: D86C9220 43000004
	ds_read_b32 v68, v4 offset:33088                           // 000000006928: D86C8140 44000004
	ds_read_b32 v69, v4 offset:37440                           // 000000006930: D86C9240 45000004
	ds_read_b32 v70, v4 offset:33120                           // 000000006938: D86C8160 46000004
	ds_read_b32 v71, v4 offset:37472                           // 000000006940: D86C9260 47000004
	ds_read_b32 v72, v4 offset:41728                           // 000000006948: D86CA300 48000004
	ds_read_b32 v73, v4 offset:46080                           // 000000006950: D86CB400 49000004
	ds_read_b32 v74, v4 offset:41760                           // 000000006958: D86CA320 4A000004
	ds_read_b32 v75, v4 offset:46112                           // 000000006960: D86CB420 4B000004
	ds_read_b32 v76, v4 offset:41792                           // 000000006968: D86CA340 4C000004
	ds_read_b32 v77, v4 offset:46144                           // 000000006970: D86CB440 4D000004
	ds_read_b32 v78, v4 offset:41824                           // 000000006978: D86CA360 4E000004
	ds_read_b32 v79, v4 offset:46176                           // 000000006980: D86CB460 4F000004
	s_waitcnt lgkmcnt(0)                                       // 000000006988: BF8CC07F
	s_mov_b64 exec, s[20:21]                                   // 00000000698C: BEFE0114
	global_atomic_pk_add_f16 v80, v64, s[8:9]                  // 000000006990: DD388000 00084050
	s_mov_b64 exec, s[36:37]                                   // 000000006998: BEFE0124
	s_mov_b64 exec, s[20:21]                                   // 00000000699C: BEFE0114
	global_atomic_pk_add_f16 v80, v65, s[8:9] offset:256       // 0000000069A0: DD388100 00084150
	s_mov_b64 exec, s[36:37]                                   // 0000000069A8: BEFE0124
	s_mov_b64 exec, s[22:23]                                   // 0000000069AC: BEFE0116
	global_atomic_pk_add_f16 v82, v66, s[8:9]                  // 0000000069B0: DD388000 00084252
	s_mov_b64 exec, s[36:37]                                   // 0000000069B8: BEFE0124
	s_mov_b64 exec, s[22:23]                                   // 0000000069BC: BEFE0116
	global_atomic_pk_add_f16 v82, v67, s[8:9] offset:256       // 0000000069C0: DD388100 00084352
	s_mov_b64 exec, s[36:37]                                   // 0000000069C8: BEFE0124
	s_mov_b64 exec, s[24:25]                                   // 0000000069CC: BEFE0118
	global_atomic_pk_add_f16 v84, v68, s[8:9]                  // 0000000069D0: DD388000 00084454
	s_mov_b64 exec, s[36:37]                                   // 0000000069D8: BEFE0124
	s_mov_b64 exec, s[24:25]                                   // 0000000069DC: BEFE0118
	global_atomic_pk_add_f16 v84, v69, s[8:9] offset:256       // 0000000069E0: DD388100 00084554
	s_mov_b64 exec, s[36:37]                                   // 0000000069E8: BEFE0124
	s_mov_b64 exec, s[26:27]                                   // 0000000069EC: BEFE011A
	global_atomic_pk_add_f16 v86, v70, s[8:9]                  // 0000000069F0: DD388000 00084656
	s_mov_b64 exec, s[36:37]                                   // 0000000069F8: BEFE0124
	s_mov_b64 exec, s[26:27]                                   // 0000000069FC: BEFE011A
	global_atomic_pk_add_f16 v86, v71, s[8:9] offset:256       // 000000006A00: DD388100 00084756
	s_mov_b64 exec, s[36:37]                                   // 000000006A08: BEFE0124
	s_mov_b64 exec, s[28:29]                                   // 000000006A0C: BEFE011C
	global_atomic_pk_add_f16 v88, v72, s[8:9]                  // 000000006A10: DD388000 00084858
	s_mov_b64 exec, s[36:37]                                   // 000000006A18: BEFE0124
	s_mov_b64 exec, s[28:29]                                   // 000000006A1C: BEFE011C
	global_atomic_pk_add_f16 v88, v73, s[8:9] offset:256       // 000000006A20: DD388100 00084958
	s_mov_b64 exec, s[36:37]                                   // 000000006A28: BEFE0124
	s_mov_b64 exec, s[30:31]                                   // 000000006A2C: BEFE011E
	global_atomic_pk_add_f16 v90, v74, s[8:9]                  // 000000006A30: DD388000 00084A5A
	s_mov_b64 exec, s[36:37]                                   // 000000006A38: BEFE0124
	s_mov_b64 exec, s[30:31]                                   // 000000006A3C: BEFE011E
	global_atomic_pk_add_f16 v90, v75, s[8:9] offset:256       // 000000006A40: DD388100 00084B5A
	s_mov_b64 exec, s[36:37]                                   // 000000006A48: BEFE0124
	s_mov_b64 exec, s[32:33]                                   // 000000006A4C: BEFE0120
	global_atomic_pk_add_f16 v92, v76, s[8:9]                  // 000000006A50: DD388000 00084C5C
	s_mov_b64 exec, s[36:37]                                   // 000000006A58: BEFE0124
	s_mov_b64 exec, s[32:33]                                   // 000000006A5C: BEFE0120
	global_atomic_pk_add_f16 v92, v77, s[8:9] offset:256       // 000000006A60: DD388100 00084D5C
	s_mov_b64 exec, s[36:37]                                   // 000000006A68: BEFE0124
	s_mov_b64 exec, s[34:35]                                   // 000000006A6C: BEFE0122
	global_atomic_pk_add_f16 v94, v78, s[8:9]                  // 000000006A70: DD388000 00084E5E
	s_mov_b64 exec, s[36:37]                                   // 000000006A78: BEFE0124
	s_mov_b64 exec, s[34:35]                                   // 000000006A7C: BEFE0122
	global_atomic_pk_add_f16 v94, v79, s[8:9] offset:256       // 000000006A80: DD388100 00084F5E
	s_mov_b64 exec, s[36:37]                                   // 000000006A88: BEFE0124
	s_add_u32 s8, s59, s8                                      // 000000006A8C: 8008083B
	s_addc_u32 s9, 0, s9                                       // 000000006A90: 82090980
	s_addk_i32 s80, 0x100                                      // 000000006A94: B7500100
	s_cmp_lt_i32 s80, s81                                      // 000000006A98: BF045150
	s_cbranch_scc0 label_0F29                                  // 000000006A9C: BF840001
	s_branch label_0A48                                        // 000000006AA0: BF82FB1F

0000000000006aa4 <label_0F29>:
	s_nop 0                                                    // 000000006AA4: BF800000
	s_nop 0                                                    // 000000006AA8: BF800000
	s_branch label_1BC2                                        // 000000006AAC: BF820C96

0000000000006ab0 <label_0F2C>:
	s_waitcnt vmcnt(20) lgkmcnt(0)                             // 000000006AB0: BF8C4074
	s_barrier                                                  // 000000006AB4: BF8A0000
	v_mfma_i32_16x16x32_i8 v[128:131], a[0:1], v[184:185], v[128:131]// 000000006AB8: D3D70080 0E037100
	buffer_load_dwordx4 a[112:115], v34, s[24:27], 0 offen     // 000000006AC0: E05C1000 80867022
	v_mfma_i32_16x16x32_i8 v[128:131], a[2:3], v[186:187], v[128:131]// 000000006AC8: D3D70080 0E037502
	v_mfma_i32_16x16x32_i8 v[128:131], a[4:5], v[188:189], v[128:131]// 000000006AD0: D3D70080 0E037904
	buffer_load_dword v26, s[20:23], 0 offen lds               // 000000006AD8: E0511000 8005001A
	s_add_u32 m0, 0x100, s50                                   // 000000006AE0: 807C32FF 00000100
	v_mfma_i32_16x16x32_i8 v[128:131], a[6:7], v[190:191], v[128:131]// 000000006AE8: D3D70080 0E037D06
	v_mfma_i32_16x16x32_i8 v[128:131], a[8:9], v[192:193], v[128:131]// 000000006AF0: D3D70080 0E038108
	buffer_load_dwordx4 a[116:119], v34, s[24:27], 0 offen offset:1024// 000000006AF8: E05C1400 80867422
	v_mfma_i32_16x16x32_i8 v[128:131], a[10:11], v[194:195], v[128:131]// 000000006B00: D3D70080 0E03850A
	v_mfma_i32_16x16x32_i8 v[128:131], a[12:13], v[196:197], v[128:131]// 000000006B08: D3D70080 0E03890C
	buffer_load_dword v27, s[20:23], 0 offen lds               // 000000006B10: E0511000 8005001B
	s_add_u32 m0, 0x200, s50                                   // 000000006B18: 807C32FF 00000200
	v_mfma_i32_16x16x32_i8 v[128:131], a[14:15], v[198:199], v[128:131]// 000000006B20: D3D70080 0E038D0E
	v_mfma_i32_16x16x32_i8 v[132:135], a[0:1], v[200:201], v[132:135]// 000000006B28: D3D70084 0E139100
	buffer_load_dwordx4 a[120:123], v34, s[24:27], 0 offen offset:2048// 000000006B30: E05C1800 80867822
	v_mfma_i32_16x16x32_i8 v[132:135], a[2:3], v[202:203], v[132:135]// 000000006B38: D3D70084 0E139502
	v_mfma_i32_16x16x32_i8 v[132:135], a[4:5], v[204:205], v[132:135]// 000000006B40: D3D70084 0E139904
	buffer_load_dword v28, s[20:23], 0 offen lds               // 000000006B48: E0511000 8005001C
	s_add_u32 m0, 0x300, s50                                   // 000000006B50: 807C32FF 00000300
	v_mfma_i32_16x16x32_i8 v[132:135], a[6:7], v[206:207], v[132:135]// 000000006B58: D3D70084 0E139D06
	v_mfma_i32_16x16x32_i8 v[132:135], a[8:9], v[208:209], v[132:135]// 000000006B60: D3D70084 0E13A108
	buffer_load_dwordx4 a[124:127], v34, s[24:27], 0 offen offset:3072// 000000006B68: E05C1C00 80867C22
	v_mfma_i32_16x16x32_i8 v[132:135], a[10:11], v[210:211], v[132:135]// 000000006B70: D3D70084 0E13A50A
	v_mfma_i32_16x16x32_i8 v[132:135], a[12:13], v[212:213], v[132:135]// 000000006B78: D3D70084 0E13A90C
	buffer_load_dword v29, s[20:23], 0 offen lds               // 000000006B80: E0511000 8005001D
	s_add_u32 m0, 0x400, s50                                   // 000000006B88: 807C32FF 00000400
	v_mfma_i32_16x16x32_i8 v[132:135], a[14:15], v[214:215], v[132:135]// 000000006B90: D3D70084 0E13AD0E
	v_mfma_i32_16x16x32_i8 v[136:139], a[16:17], v[184:185], v[136:139]// 000000006B98: D3D70088 0E237110
	buffer_load_dwordx4 a[128:131], v35, s[24:27], 0 offen     // 000000006BA0: E05C1000 80868023
	v_mfma_i32_16x16x32_i8 v[136:139], a[18:19], v[186:187], v[136:139]// 000000006BA8: D3D70088 0E237512
	v_mfma_i32_16x16x32_i8 v[136:139], a[20:21], v[188:189], v[136:139]// 000000006BB0: D3D70088 0E237914
	buffer_load_dword v30, s[20:23], 0 offen lds               // 000000006BB8: E0511000 8005001E
	s_add_u32 m0, 0x500, s50                                   // 000000006BC0: 807C32FF 00000500
	v_mfma_i32_16x16x32_i8 v[136:139], a[22:23], v[190:191], v[136:139]// 000000006BC8: D3D70088 0E237D16
	v_mfma_i32_16x16x32_i8 v[136:139], a[24:25], v[192:193], v[136:139]// 000000006BD0: D3D70088 0E238118
	buffer_load_dwordx4 a[132:135], v35, s[24:27], 0 offen offset:1024// 000000006BD8: E05C1400 80868423
	v_mfma_i32_16x16x32_i8 v[136:139], a[26:27], v[194:195], v[136:139]// 000000006BE0: D3D70088 0E23851A
	v_mfma_i32_16x16x32_i8 v[136:139], a[28:29], v[196:197], v[136:139]// 000000006BE8: D3D70088 0E23891C
	buffer_load_dword v31, s[20:23], 0 offen lds               // 000000006BF0: E0511000 8005001F
	s_add_u32 m0, 0x600, s50                                   // 000000006BF8: 807C32FF 00000600
	v_mfma_i32_16x16x32_i8 v[136:139], a[30:31], v[198:199], v[136:139]// 000000006C00: D3D70088 0E238D1E
	v_mfma_i32_16x16x32_i8 v[140:143], a[16:17], v[200:201], v[140:143]// 000000006C08: D3D7008C 0E339110
	buffer_load_dwordx4 a[136:139], v35, s[24:27], 0 offen offset:2048// 000000006C10: E05C1800 80868823
	v_mfma_i32_16x16x32_i8 v[140:143], a[18:19], v[202:203], v[140:143]// 000000006C18: D3D7008C 0E339512
	v_mfma_i32_16x16x32_i8 v[140:143], a[20:21], v[204:205], v[140:143]// 000000006C20: D3D7008C 0E339914
	buffer_load_dword v32, s[20:23], 0 offen lds               // 000000006C28: E0511000 80050020
	s_add_u32 m0, 0x700, s50                                   // 000000006C30: 807C32FF 00000700
	v_mfma_i32_16x16x32_i8 v[140:143], a[22:23], v[206:207], v[140:143]// 000000006C38: D3D7008C 0E339D16
	v_mfma_i32_16x16x32_i8 v[140:143], a[24:25], v[208:209], v[140:143]// 000000006C40: D3D7008C 0E33A118
	buffer_load_dwordx4 a[140:143], v35, s[24:27], 0 offen offset:3072// 000000006C48: E05C1C00 80868C23
	v_mfma_i32_16x16x32_i8 v[140:143], a[26:27], v[210:211], v[140:143]// 000000006C50: D3D7008C 0E33A51A
	v_mfma_i32_16x16x32_i8 v[140:143], a[28:29], v[212:213], v[140:143]// 000000006C58: D3D7008C 0E33A91C
	buffer_load_dword v33, s[20:23], 0 offen lds               // 000000006C60: E0511000 80050021
	s_add_u32 m0, 0, s51                                       // 000000006C68: 807C3380
	v_mfma_i32_16x16x32_i8 v[140:143], a[30:31], v[214:215], v[140:143]// 000000006C6C: D3D7008C 0E33AD1E
	s_waitcnt vmcnt(32)                                        // 000000006C74: BF8C8F70
	v_mfma_i32_16x16x32_i8 v[144:147], a[32:33], v[184:185], v[144:147]// 000000006C78: D3D70090 0E437120
	buffer_load_dwordx4 a[144:147], v36, s[24:27], 0 offen     // 000000006C80: E05C1000 80869024
	v_mfma_i32_16x16x32_i8 v[144:147], a[34:35], v[186:187], v[144:147]// 000000006C88: D3D70090 0E437522
	v_mfma_i32_16x16x32_i8 v[144:147], a[36:37], v[188:189], v[144:147]// 000000006C90: D3D70090 0E437924
	ds_read_b128 v[216:219], v2 offset:8320                    // 000000006C98: D9FE2080 D8000002
	v_mfma_i32_16x16x32_i8 v[144:147], a[38:39], v[190:191], v[144:147]// 000000006CA0: D3D70090 0E437D26
	v_mfma_i32_16x16x32_i8 v[144:147], a[40:41], v[192:193], v[144:147]// 000000006CA8: D3D70090 0E438128
	buffer_load_dwordx4 a[148:151], v36, s[24:27], 0 offen offset:1024// 000000006CB0: E05C1400 80869424
	v_mfma_i32_16x16x32_i8 v[144:147], a[42:43], v[194:195], v[144:147]// 000000006CB8: D3D70090 0E43852A
	v_mfma_i32_16x16x32_i8 v[144:147], a[44:45], v[196:197], v[144:147]// 000000006CC0: D3D70090 0E43892C
	ds_read_b128 v[220:223], v2 offset:8384                    // 000000006CC8: D9FE20C0 DC000002
	v_mfma_i32_16x16x32_i8 v[144:147], a[46:47], v[198:199], v[144:147]// 000000006CD0: D3D70090 0E438D2E
	v_mfma_i32_16x16x32_i8 v[148:151], a[32:33], v[200:201], v[148:151]// 000000006CD8: D3D70094 0E539120
	buffer_load_dwordx4 a[152:155], v36, s[24:27], 0 offen offset:2048// 000000006CE0: E05C1800 80869824
	v_mfma_i32_16x16x32_i8 v[148:151], a[34:35], v[202:203], v[148:151]// 000000006CE8: D3D70094 0E539522
	v_mfma_i32_16x16x32_i8 v[148:151], a[36:37], v[204:205], v[148:151]// 000000006CF0: D3D70094 0E539924
	ds_read_b128 v[224:227], v2 offset:8448                    // 000000006CF8: D9FE2100 E0000002
	v_mfma_i32_16x16x32_i8 v[148:151], a[38:39], v[206:207], v[148:151]// 000000006D00: D3D70094 0E539D26
	v_mfma_i32_16x16x32_i8 v[148:151], a[40:41], v[208:209], v[148:151]// 000000006D08: D3D70094 0E53A128
	buffer_load_dwordx4 a[156:159], v36, s[24:27], 0 offen offset:3072// 000000006D10: E05C1C00 80869C24
	v_mfma_i32_16x16x32_i8 v[148:151], a[42:43], v[210:211], v[148:151]// 000000006D18: D3D70094 0E53A52A
	v_mfma_i32_16x16x32_i8 v[148:151], a[44:45], v[212:213], v[148:151]// 000000006D20: D3D70094 0E53A92C
	ds_read_b128 v[228:231], v2 offset:8512                    // 000000006D28: D9FE2140 E4000002
	v_mfma_i32_16x16x32_i8 v[148:151], a[46:47], v[214:215], v[148:151]// 000000006D30: D3D70094 0E53AD2E
	s_waitcnt vmcnt(32)                                        // 000000006D38: BF8C8F70
	v_mfma_i32_16x16x32_i8 v[152:155], a[48:49], v[184:185], v[152:155]// 000000006D3C: D3D70098 0E637130
	buffer_load_dwordx4 a[160:163], v37, s[24:27], 0 offen     // 000000006D44: E05C1000 8086A025
	v_mfma_i32_16x16x32_i8 v[152:155], a[50:51], v[186:187], v[152:155]// 000000006D4C: D3D70098 0E637532
	v_mfma_i32_16x16x32_i8 v[152:155], a[52:53], v[188:189], v[152:155]// 000000006D54: D3D70098 0E637934
	ds_read_b128 v[232:235], v2 offset:9344                    // 000000006D5C: D9FE2480 E8000002
	v_mfma_i32_16x16x32_i8 v[152:155], a[54:55], v[190:191], v[152:155]// 000000006D64: D3D70098 0E637D36
	v_mfma_i32_16x16x32_i8 v[152:155], a[56:57], v[192:193], v[152:155]// 000000006D6C: D3D70098 0E638138
	buffer_load_dwordx4 a[164:167], v37, s[24:27], 0 offen offset:1024// 000000006D74: E05C1400 8086A425
	v_mfma_i32_16x16x32_i8 v[152:155], a[58:59], v[194:195], v[152:155]// 000000006D7C: D3D70098 0E63853A
	v_mfma_i32_16x16x32_i8 v[152:155], a[60:61], v[196:197], v[152:155]// 000000006D84: D3D70098 0E63893C
	ds_read_b128 v[236:239], v2 offset:9408                    // 000000006D8C: D9FE24C0 EC000002
	v_mfma_i32_16x16x32_i8 v[152:155], a[62:63], v[198:199], v[152:155]// 000000006D94: D3D70098 0E638D3E
	v_mfma_i32_16x16x32_i8 v[156:159], a[48:49], v[200:201], v[156:159]// 000000006D9C: D3D7009C 0E739130
	buffer_load_dwordx4 a[168:171], v37, s[24:27], 0 offen offset:2048// 000000006DA4: E05C1800 8086A825
	v_mfma_i32_16x16x32_i8 v[156:159], a[50:51], v[202:203], v[156:159]// 000000006DAC: D3D7009C 0E739532
	v_mfma_i32_16x16x32_i8 v[156:159], a[52:53], v[204:205], v[156:159]// 000000006DB4: D3D7009C 0E739934
	ds_read_b128 v[240:243], v2 offset:9472                    // 000000006DBC: D9FE2500 F0000002
	v_mfma_i32_16x16x32_i8 v[156:159], a[54:55], v[206:207], v[156:159]// 000000006DC4: D3D7009C 0E739D36
	v_mfma_i32_16x16x32_i8 v[156:159], a[56:57], v[208:209], v[156:159]// 000000006DCC: D3D7009C 0E73A138
	buffer_load_dwordx4 a[172:175], v37, s[24:27], 0 offen offset:3072// 000000006DD4: E05C1C00 8086AC25
	v_mfma_i32_16x16x32_i8 v[156:159], a[58:59], v[210:211], v[156:159]// 000000006DDC: D3D7009C 0E73A53A
	v_mfma_i32_16x16x32_i8 v[156:159], a[60:61], v[212:213], v[156:159]// 000000006DE4: D3D7009C 0E73A93C
	ds_read_b128 v[244:247], v2 offset:9536                    // 000000006DEC: D9FE2540 F4000002
	v_mfma_i32_16x16x32_i8 v[156:159], a[62:63], v[214:215], v[156:159]// 000000006DF4: D3D7009C 0E73AD3E
	s_waitcnt vmcnt(32)                                        // 000000006DFC: BF8C8F70
	v_mfma_i32_16x16x32_i8 v[160:163], a[64:65], v[184:185], v[160:163]// 000000006E00: D3D700A0 0E837140
	buffer_load_dwordx4 a[176:179], v38, s[24:27], 0 offen     // 000000006E08: E05C1000 8086B026
	v_mfma_i32_16x16x32_i8 v[160:163], a[66:67], v[186:187], v[160:163]// 000000006E10: D3D700A0 0E837542
	v_mfma_i32_16x16x32_i8 v[160:163], a[68:69], v[188:189], v[160:163]// 000000006E18: D3D700A0 0E837944
	v_mfma_i32_16x16x32_i8 v[160:163], a[70:71], v[190:191], v[160:163]// 000000006E20: D3D700A0 0E837D46
	v_mfma_i32_16x16x32_i8 v[160:163], a[72:73], v[192:193], v[160:163]// 000000006E28: D3D700A0 0E838148
	buffer_load_dwordx4 a[180:183], v38, s[24:27], 0 offen offset:1024// 000000006E30: E05C1400 8086B426
	v_mfma_i32_16x16x32_i8 v[160:163], a[74:75], v[194:195], v[160:163]// 000000006E38: D3D700A0 0E83854A
	v_mfma_i32_16x16x32_i8 v[160:163], a[76:77], v[196:197], v[160:163]// 000000006E40: D3D700A0 0E83894C
	v_mfma_i32_16x16x32_i8 v[160:163], a[78:79], v[198:199], v[160:163]// 000000006E48: D3D700A0 0E838D4E
	v_mfma_i32_16x16x32_i8 v[164:167], a[64:65], v[200:201], v[164:167]// 000000006E50: D3D700A4 0E939140
	buffer_load_dwordx4 a[184:187], v38, s[24:27], 0 offen offset:2048// 000000006E58: E05C1800 8086B826
	v_mfma_i32_16x16x32_i8 v[164:167], a[66:67], v[202:203], v[164:167]// 000000006E60: D3D700A4 0E939542
	v_mfma_i32_16x16x32_i8 v[164:167], a[68:69], v[204:205], v[164:167]// 000000006E68: D3D700A4 0E939944
	v_mfma_i32_16x16x32_i8 v[164:167], a[70:71], v[206:207], v[164:167]// 000000006E70: D3D700A4 0E939D46
	v_mfma_i32_16x16x32_i8 v[164:167], a[72:73], v[208:209], v[164:167]// 000000006E78: D3D700A4 0E93A148
	buffer_load_dwordx4 a[188:191], v38, s[24:27], 0 offen offset:3072// 000000006E80: E05C1C00 8086BC26
	v_mfma_i32_16x16x32_i8 v[164:167], a[74:75], v[210:211], v[164:167]// 000000006E88: D3D700A4 0E93A54A
	v_mfma_i32_16x16x32_i8 v[164:167], a[76:77], v[212:213], v[164:167]// 000000006E90: D3D700A4 0E93A94C
	v_mfma_i32_16x16x32_i8 v[164:167], a[78:79], v[214:215], v[164:167]// 000000006E98: D3D700A4 0E93AD4E
	s_waitcnt vmcnt(32)                                        // 000000006EA0: BF8C8F70
	v_mfma_i32_16x16x32_i8 v[168:171], a[80:81], v[184:185], v[168:171]// 000000006EA4: D3D700A8 0EA37150
	buffer_load_dwordx4 a[192:195], v39, s[24:27], 0 offen     // 000000006EAC: E05C1000 8086C027
	v_mfma_i32_16x16x32_i8 v[168:171], a[82:83], v[186:187], v[168:171]// 000000006EB4: D3D700A8 0EA37552
	v_mfma_i32_16x16x32_i8 v[168:171], a[84:85], v[188:189], v[168:171]// 000000006EBC: D3D700A8 0EA37954
	v_mfma_i32_16x16x32_i8 v[168:171], a[86:87], v[190:191], v[168:171]// 000000006EC4: D3D700A8 0EA37D56
	v_mfma_i32_16x16x32_i8 v[168:171], a[88:89], v[192:193], v[168:171]// 000000006ECC: D3D700A8 0EA38158
	buffer_load_dwordx4 a[196:199], v39, s[24:27], 0 offen offset:1024// 000000006ED4: E05C1400 8086C427
	v_mfma_i32_16x16x32_i8 v[168:171], a[90:91], v[194:195], v[168:171]// 000000006EDC: D3D700A8 0EA3855A
	v_mfma_i32_16x16x32_i8 v[168:171], a[92:93], v[196:197], v[168:171]// 000000006EE4: D3D700A8 0EA3895C
	v_mfma_i32_16x16x32_i8 v[168:171], a[94:95], v[198:199], v[168:171]// 000000006EEC: D3D700A8 0EA38D5E
	v_mfma_i32_16x16x32_i8 v[172:175], a[80:81], v[200:201], v[172:175]// 000000006EF4: D3D700AC 0EB39150
	buffer_load_dwordx4 a[200:203], v39, s[24:27], 0 offen offset:2048// 000000006EFC: E05C1800 8086C827
	v_mfma_i32_16x16x32_i8 v[172:175], a[82:83], v[202:203], v[172:175]// 000000006F04: D3D700AC 0EB39552
	v_mfma_i32_16x16x32_i8 v[172:175], a[84:85], v[204:205], v[172:175]// 000000006F0C: D3D700AC 0EB39954
	v_mfma_i32_16x16x32_i8 v[172:175], a[86:87], v[206:207], v[172:175]// 000000006F14: D3D700AC 0EB39D56
	v_mfma_i32_16x16x32_i8 v[172:175], a[88:89], v[208:209], v[172:175]// 000000006F1C: D3D700AC 0EB3A158
	buffer_load_dwordx4 a[204:207], v39, s[24:27], 0 offen offset:3072// 000000006F24: E05C1C00 8086CC27
	v_mfma_i32_16x16x32_i8 v[172:175], a[90:91], v[210:211], v[172:175]// 000000006F2C: D3D700AC 0EB3A55A
	v_mfma_i32_16x16x32_i8 v[172:175], a[92:93], v[212:213], v[172:175]// 000000006F34: D3D700AC 0EB3A95C
	v_mfma_i32_16x16x32_i8 v[172:175], a[94:95], v[214:215], v[172:175]// 000000006F3C: D3D700AC 0EB3AD5E
	s_waitcnt vmcnt(32)                                        // 000000006F44: BF8C8F70
	v_mfma_i32_16x16x32_i8 v[176:179], a[96:97], v[184:185], v[176:179]// 000000006F48: D3D700B0 0EC37160
	buffer_load_dwordx4 a[208:211], v40, s[24:27], 0 offen     // 000000006F50: E05C1000 8086D028
	v_mfma_i32_16x16x32_i8 v[176:179], a[98:99], v[186:187], v[176:179]// 000000006F58: D3D700B0 0EC37562
	v_mfma_i32_16x16x32_i8 v[176:179], a[100:101], v[188:189], v[176:179]// 000000006F60: D3D700B0 0EC37964
	v_mfma_i32_16x16x32_i8 v[176:179], a[102:103], v[190:191], v[176:179]// 000000006F68: D3D700B0 0EC37D66
	v_mfma_i32_16x16x32_i8 v[176:179], a[104:105], v[192:193], v[176:179]// 000000006F70: D3D700B0 0EC38168
	buffer_load_dwordx4 a[212:215], v40, s[24:27], 0 offen offset:1024// 000000006F78: E05C1400 8086D428
	v_mfma_i32_16x16x32_i8 v[176:179], a[106:107], v[194:195], v[176:179]// 000000006F80: D3D700B0 0EC3856A
	v_mfma_i32_16x16x32_i8 v[176:179], a[108:109], v[196:197], v[176:179]// 000000006F88: D3D700B0 0EC3896C
	v_mfma_i32_16x16x32_i8 v[176:179], a[110:111], v[198:199], v[176:179]// 000000006F90: D3D700B0 0EC38D6E
	v_mfma_i32_16x16x32_i8 v[180:183], a[96:97], v[200:201], v[180:183]// 000000006F98: D3D700B4 0ED39160
	buffer_load_dwordx4 a[216:219], v40, s[24:27], 0 offen offset:2048// 000000006FA0: E05C1800 8086D828
	v_mfma_i32_16x16x32_i8 v[180:183], a[98:99], v[202:203], v[180:183]// 000000006FA8: D3D700B4 0ED39562
	v_mfma_i32_16x16x32_i8 v[180:183], a[100:101], v[204:205], v[180:183]// 000000006FB0: D3D700B4 0ED39964
	v_mfma_i32_16x16x32_i8 v[180:183], a[102:103], v[206:207], v[180:183]// 000000006FB8: D3D700B4 0ED39D66
	v_mfma_i32_16x16x32_i8 v[180:183], a[104:105], v[208:209], v[180:183]// 000000006FC0: D3D700B4 0ED3A168
	buffer_load_dwordx4 a[220:223], v40, s[24:27], 0 offen offset:3072// 000000006FC8: E05C1C00 8086DC28
	v_mfma_i32_16x16x32_i8 v[180:183], a[106:107], v[210:211], v[180:183]// 000000006FD0: D3D700B4 0ED3A56A
	v_mfma_i32_16x16x32_i8 v[180:183], a[108:109], v[212:213], v[180:183]// 000000006FD8: D3D700B4 0ED3A96C
	v_mfma_i32_16x16x32_i8 v[180:183], a[110:111], v[214:215], v[180:183]// 000000006FE0: D3D700B4 0ED3AD6E
	s_add_u32 s60, 0x300, s80                                  // 000000006FE8: 803C50FF 00000300
	s_cmp_lt_u32 s60, s81                                      // 000000006FF0: BF0A513C
	s_cselect_b32 s57, s57, 0                                  // 000000006FF4: 85398039
	s_add_u32 s60, 0x200, s80                                  // 000000006FF8: 803C50FF 00000200
	s_cmp_lt_u32 s60, s81                                      // 000000007000: BF0A513C
	s_cselect_b32 s58, s58, 0                                  // 000000007004: 853A803A
	s_add_u32 s20, s57, s20                                    // 000000007008: 80141439
	s_addc_u32 s21, 0, s21                                     // 00000000700C: 82151580
	s_add_u32 s24, s58, s24                                    // 000000007010: 8018183A
	s_addc_u32 s25, 0, s25                                     // 000000007014: 82191980
	s_addk_i32 s80, 0x100                                      // 000000007018: B7500100
	s_cmp_lt_i32 s80, s81                                      // 00000000701C: BF045150
	s_cbranch_scc0 label_11E7                                  // 000000007020: BF84015E
	s_waitcnt vmcnt(20) lgkmcnt(0)                             // 000000007024: BF8C4074
	s_barrier                                                  // 000000007028: BF8A0000
	v_mfma_i32_16x16x32_i8 v[128:131], a[112:113], v[216:217], v[128:131]// 00000000702C: D3D70080 0E03B170
	buffer_load_dwordx4 a[0:3], v34, s[24:27], 0 offen         // 000000007034: E05C1000 80860022
	v_mfma_i32_16x16x32_i8 v[128:131], a[114:115], v[218:219], v[128:131]// 00000000703C: D3D70080 0E03B572
	v_mfma_i32_16x16x32_i8 v[128:131], a[116:117], v[220:221], v[128:131]// 000000007044: D3D70080 0E03B974
	buffer_load_dword v26, s[20:23], 0 offen lds               // 00000000704C: E0511000 8005001A
	s_add_u32 m0, 0x100, s51                                   // 000000007054: 807C33FF 00000100
	v_mfma_i32_16x16x32_i8 v[128:131], a[118:119], v[222:223], v[128:131]// 00000000705C: D3D70080 0E03BD76
	v_mfma_i32_16x16x32_i8 v[128:131], a[120:121], v[224:225], v[128:131]// 000000007064: D3D70080 0E03C178
	buffer_load_dwordx4 a[4:7], v34, s[24:27], 0 offen offset:1024// 00000000706C: E05C1400 80860422
	v_mfma_i32_16x16x32_i8 v[128:131], a[122:123], v[226:227], v[128:131]// 000000007074: D3D70080 0E03C57A
	v_mfma_i32_16x16x32_i8 v[128:131], a[124:125], v[228:229], v[128:131]// 00000000707C: D3D70080 0E03C97C
	buffer_load_dword v27, s[20:23], 0 offen lds               // 000000007084: E0511000 8005001B
	s_add_u32 m0, 0x200, s51                                   // 00000000708C: 807C33FF 00000200
	v_mfma_i32_16x16x32_i8 v[128:131], a[126:127], v[230:231], v[128:131]// 000000007094: D3D70080 0E03CD7E
	v_mfma_i32_16x16x32_i8 v[132:135], a[112:113], v[232:233], v[132:135]// 00000000709C: D3D70084 0E13D170
	buffer_load_dwordx4 a[8:11], v34, s[24:27], 0 offen offset:2048// 0000000070A4: E05C1800 80860822
	v_mfma_i32_16x16x32_i8 v[132:135], a[114:115], v[234:235], v[132:135]// 0000000070AC: D3D70084 0E13D572
	v_mfma_i32_16x16x32_i8 v[132:135], a[116:117], v[236:237], v[132:135]// 0000000070B4: D3D70084 0E13D974
	buffer_load_dword v28, s[20:23], 0 offen lds               // 0000000070BC: E0511000 8005001C
	s_add_u32 m0, 0x300, s51                                   // 0000000070C4: 807C33FF 00000300
	v_mfma_i32_16x16x32_i8 v[132:135], a[118:119], v[238:239], v[132:135]// 0000000070CC: D3D70084 0E13DD76
	v_mfma_i32_16x16x32_i8 v[132:135], a[120:121], v[240:241], v[132:135]// 0000000070D4: D3D70084 0E13E178
	buffer_load_dwordx4 a[12:15], v34, s[24:27], 0 offen offset:3072// 0000000070DC: E05C1C00 80860C22
	v_mfma_i32_16x16x32_i8 v[132:135], a[122:123], v[242:243], v[132:135]// 0000000070E4: D3D70084 0E13E57A
	v_mfma_i32_16x16x32_i8 v[132:135], a[124:125], v[244:245], v[132:135]// 0000000070EC: D3D70084 0E13E97C
	buffer_load_dword v29, s[20:23], 0 offen lds               // 0000000070F4: E0511000 8005001D
	s_add_u32 m0, 0x400, s51                                   // 0000000070FC: 807C33FF 00000400
	v_mfma_i32_16x16x32_i8 v[132:135], a[126:127], v[246:247], v[132:135]// 000000007104: D3D70084 0E13ED7E
	v_mfma_i32_16x16x32_i8 v[136:139], a[128:129], v[216:217], v[136:139]// 00000000710C: D3D70088 0E23B180
	buffer_load_dwordx4 a[16:19], v35, s[24:27], 0 offen       // 000000007114: E05C1000 80861023
	v_mfma_i32_16x16x32_i8 v[136:139], a[130:131], v[218:219], v[136:139]// 00000000711C: D3D70088 0E23B582
	v_mfma_i32_16x16x32_i8 v[136:139], a[132:133], v[220:221], v[136:139]// 000000007124: D3D70088 0E23B984
	buffer_load_dword v30, s[20:23], 0 offen lds               // 00000000712C: E0511000 8005001E
	s_add_u32 m0, 0x500, s51                                   // 000000007134: 807C33FF 00000500
	v_mfma_i32_16x16x32_i8 v[136:139], a[134:135], v[222:223], v[136:139]// 00000000713C: D3D70088 0E23BD86
	v_mfma_i32_16x16x32_i8 v[136:139], a[136:137], v[224:225], v[136:139]// 000000007144: D3D70088 0E23C188
	buffer_load_dwordx4 a[20:23], v35, s[24:27], 0 offen offset:1024// 00000000714C: E05C1400 80861423
	v_mfma_i32_16x16x32_i8 v[136:139], a[138:139], v[226:227], v[136:139]// 000000007154: D3D70088 0E23C58A
	v_mfma_i32_16x16x32_i8 v[136:139], a[140:141], v[228:229], v[136:139]// 00000000715C: D3D70088 0E23C98C
	buffer_load_dword v31, s[20:23], 0 offen lds               // 000000007164: E0511000 8005001F
	s_add_u32 m0, 0x600, s51                                   // 00000000716C: 807C33FF 00000600
	v_mfma_i32_16x16x32_i8 v[136:139], a[142:143], v[230:231], v[136:139]// 000000007174: D3D70088 0E23CD8E
	v_mfma_i32_16x16x32_i8 v[140:143], a[128:129], v[232:233], v[140:143]// 00000000717C: D3D7008C 0E33D180
	buffer_load_dwordx4 a[24:27], v35, s[24:27], 0 offen offset:2048// 000000007184: E05C1800 80861823
	v_mfma_i32_16x16x32_i8 v[140:143], a[130:131], v[234:235], v[140:143]// 00000000718C: D3D7008C 0E33D582
	v_mfma_i32_16x16x32_i8 v[140:143], a[132:133], v[236:237], v[140:143]// 000000007194: D3D7008C 0E33D984
	buffer_load_dword v32, s[20:23], 0 offen lds               // 00000000719C: E0511000 80050020
	s_add_u32 m0, 0x700, s51                                   // 0000000071A4: 807C33FF 00000700
	v_mfma_i32_16x16x32_i8 v[140:143], a[134:135], v[238:239], v[140:143]// 0000000071AC: D3D7008C 0E33DD86
	v_mfma_i32_16x16x32_i8 v[140:143], a[136:137], v[240:241], v[140:143]// 0000000071B4: D3D7008C 0E33E188
	buffer_load_dwordx4 a[28:31], v35, s[24:27], 0 offen offset:3072// 0000000071BC: E05C1C00 80861C23
	v_mfma_i32_16x16x32_i8 v[140:143], a[138:139], v[242:243], v[140:143]// 0000000071C4: D3D7008C 0E33E58A
	v_mfma_i32_16x16x32_i8 v[140:143], a[140:141], v[244:245], v[140:143]// 0000000071CC: D3D7008C 0E33E98C
	buffer_load_dword v33, s[20:23], 0 offen lds               // 0000000071D4: E0511000 80050021
	s_add_u32 m0, 0, s50                                       // 0000000071DC: 807C3280
	v_mfma_i32_16x16x32_i8 v[140:143], a[142:143], v[246:247], v[140:143]// 0000000071E0: D3D7008C 0E33ED8E
	s_waitcnt vmcnt(32)                                        // 0000000071E8: BF8C8F70
	v_mfma_i32_16x16x32_i8 v[144:147], a[144:145], v[216:217], v[144:147]// 0000000071EC: D3D70090 0E43B190
	buffer_load_dwordx4 a[32:35], v36, s[24:27], 0 offen       // 0000000071F4: E05C1000 80862024
	v_mfma_i32_16x16x32_i8 v[144:147], a[146:147], v[218:219], v[144:147]// 0000000071FC: D3D70090 0E43B592
	v_mfma_i32_16x16x32_i8 v[144:147], a[148:149], v[220:221], v[144:147]// 000000007204: D3D70090 0E43B994
	ds_read_b128 v[184:187], v2                                // 00000000720C: D9FE0000 B8000002
	v_mfma_i32_16x16x32_i8 v[144:147], a[150:151], v[222:223], v[144:147]// 000000007214: D3D70090 0E43BD96
	v_mfma_i32_16x16x32_i8 v[144:147], a[152:153], v[224:225], v[144:147]// 00000000721C: D3D70090 0E43C198
	buffer_load_dwordx4 a[36:39], v36, s[24:27], 0 offen offset:1024// 000000007224: E05C1400 80862424
	v_mfma_i32_16x16x32_i8 v[144:147], a[154:155], v[226:227], v[144:147]// 00000000722C: D3D70090 0E43C59A
	v_mfma_i32_16x16x32_i8 v[144:147], a[156:157], v[228:229], v[144:147]// 000000007234: D3D70090 0E43C99C
	ds_read_b128 v[188:191], v2 offset:64                      // 00000000723C: D9FE0040 BC000002
	v_mfma_i32_16x16x32_i8 v[144:147], a[158:159], v[230:231], v[144:147]// 000000007244: D3D70090 0E43CD9E
	v_mfma_i32_16x16x32_i8 v[148:151], a[144:145], v[232:233], v[148:151]// 00000000724C: D3D70094 0E53D190
	buffer_load_dwordx4 a[40:43], v36, s[24:27], 0 offen offset:2048// 000000007254: E05C1800 80862824
	v_mfma_i32_16x16x32_i8 v[148:151], a[146:147], v[234:235], v[148:151]// 00000000725C: D3D70094 0E53D592
	v_mfma_i32_16x16x32_i8 v[148:151], a[148:149], v[236:237], v[148:151]// 000000007264: D3D70094 0E53D994
	ds_read_b128 v[192:195], v2 offset:128                     // 00000000726C: D9FE0080 C0000002
	v_mfma_i32_16x16x32_i8 v[148:151], a[150:151], v[238:239], v[148:151]// 000000007274: D3D70094 0E53DD96
	v_mfma_i32_16x16x32_i8 v[148:151], a[152:153], v[240:241], v[148:151]// 00000000727C: D3D70094 0E53E198
	buffer_load_dwordx4 a[44:47], v36, s[24:27], 0 offen offset:3072// 000000007284: E05C1C00 80862C24
	v_mfma_i32_16x16x32_i8 v[148:151], a[154:155], v[242:243], v[148:151]// 00000000728C: D3D70094 0E53E59A
	v_mfma_i32_16x16x32_i8 v[148:151], a[156:157], v[244:245], v[148:151]// 000000007294: D3D70094 0E53E99C
	ds_read_b128 v[196:199], v2 offset:192                     // 00000000729C: D9FE00C0 C4000002
	v_mfma_i32_16x16x32_i8 v[148:151], a[158:159], v[246:247], v[148:151]// 0000000072A4: D3D70094 0E53ED9E
	s_waitcnt vmcnt(32)                                        // 0000000072AC: BF8C8F70
	v_mfma_i32_16x16x32_i8 v[152:155], a[160:161], v[216:217], v[152:155]// 0000000072B0: D3D70098 0E63B1A0
	buffer_load_dwordx4 a[48:51], v37, s[24:27], 0 offen       // 0000000072B8: E05C1000 80863025
	v_mfma_i32_16x16x32_i8 v[152:155], a[162:163], v[218:219], v[152:155]// 0000000072C0: D3D70098 0E63B5A2
	v_mfma_i32_16x16x32_i8 v[152:155], a[164:165], v[220:221], v[152:155]// 0000000072C8: D3D70098 0E63B9A4
	ds_read_b128 v[200:203], v2 offset:1024                    // 0000000072D0: D9FE0400 C8000002
	v_mfma_i32_16x16x32_i8 v[152:155], a[166:167], v[222:223], v[152:155]// 0000000072D8: D3D70098 0E63BDA6
	v_mfma_i32_16x16x32_i8 v[152:155], a[168:169], v[224:225], v[152:155]// 0000000072E0: D3D70098 0E63C1A8
	buffer_load_dwordx4 a[52:55], v37, s[24:27], 0 offen offset:1024// 0000000072E8: E05C1400 80863425
	v_mfma_i32_16x16x32_i8 v[152:155], a[170:171], v[226:227], v[152:155]// 0000000072F0: D3D70098 0E63C5AA
	v_mfma_i32_16x16x32_i8 v[152:155], a[172:173], v[228:229], v[152:155]// 0000000072F8: D3D70098 0E63C9AC
	ds_read_b128 v[204:207], v2 offset:1088                    // 000000007300: D9FE0440 CC000002
	v_mfma_i32_16x16x32_i8 v[152:155], a[174:175], v[230:231], v[152:155]// 000000007308: D3D70098 0E63CDAE
	v_mfma_i32_16x16x32_i8 v[156:159], a[160:161], v[232:233], v[156:159]// 000000007310: D3D7009C 0E73D1A0
	buffer_load_dwordx4 a[56:59], v37, s[24:27], 0 offen offset:2048// 000000007318: E05C1800 80863825
	v_mfma_i32_16x16x32_i8 v[156:159], a[162:163], v[234:235], v[156:159]// 000000007320: D3D7009C 0E73D5A2
	v_mfma_i32_16x16x32_i8 v[156:159], a[164:165], v[236:237], v[156:159]// 000000007328: D3D7009C 0E73D9A4
	ds_read_b128 v[208:211], v2 offset:1152                    // 000000007330: D9FE0480 D0000002
	v_mfma_i32_16x16x32_i8 v[156:159], a[166:167], v[238:239], v[156:159]// 000000007338: D3D7009C 0E73DDA6
	v_mfma_i32_16x16x32_i8 v[156:159], a[168:169], v[240:241], v[156:159]// 000000007340: D3D7009C 0E73E1A8
	buffer_load_dwordx4 a[60:63], v37, s[24:27], 0 offen offset:3072// 000000007348: E05C1C00 80863C25
	v_mfma_i32_16x16x32_i8 v[156:159], a[170:171], v[242:243], v[156:159]// 000000007350: D3D7009C 0E73E5AA
	v_mfma_i32_16x16x32_i8 v[156:159], a[172:173], v[244:245], v[156:159]// 000000007358: D3D7009C 0E73E9AC
	ds_read_b128 v[212:215], v2 offset:1216                    // 000000007360: D9FE04C0 D4000002
	v_mfma_i32_16x16x32_i8 v[156:159], a[174:175], v[246:247], v[156:159]// 000000007368: D3D7009C 0E73EDAE
	s_waitcnt vmcnt(32)                                        // 000000007370: BF8C8F70
	v_mfma_i32_16x16x32_i8 v[160:163], a[176:177], v[216:217], v[160:163]// 000000007374: D3D700A0 0E83B1B0
	buffer_load_dwordx4 a[64:67], v38, s[24:27], 0 offen       // 00000000737C: E05C1000 80864026
	v_mfma_i32_16x16x32_i8 v[160:163], a[178:179], v[218:219], v[160:163]// 000000007384: D3D700A0 0E83B5B2
	v_mfma_i32_16x16x32_i8 v[160:163], a[180:181], v[220:221], v[160:163]// 00000000738C: D3D700A0 0E83B9B4
	v_mfma_i32_16x16x32_i8 v[160:163], a[182:183], v[222:223], v[160:163]// 000000007394: D3D700A0 0E83BDB6
	v_mfma_i32_16x16x32_i8 v[160:163], a[184:185], v[224:225], v[160:163]// 00000000739C: D3D700A0 0E83C1B8
	buffer_load_dwordx4 a[68:71], v38, s[24:27], 0 offen offset:1024// 0000000073A4: E05C1400 80864426
	v_mfma_i32_16x16x32_i8 v[160:163], a[186:187], v[226:227], v[160:163]// 0000000073AC: D3D700A0 0E83C5BA
	v_mfma_i32_16x16x32_i8 v[160:163], a[188:189], v[228:229], v[160:163]// 0000000073B4: D3D700A0 0E83C9BC
	v_mfma_i32_16x16x32_i8 v[160:163], a[190:191], v[230:231], v[160:163]// 0000000073BC: D3D700A0 0E83CDBE
	v_mfma_i32_16x16x32_i8 v[164:167], a[176:177], v[232:233], v[164:167]// 0000000073C4: D3D700A4 0E93D1B0
	buffer_load_dwordx4 a[72:75], v38, s[24:27], 0 offen offset:2048// 0000000073CC: E05C1800 80864826
	v_mfma_i32_16x16x32_i8 v[164:167], a[178:179], v[234:235], v[164:167]// 0000000073D4: D3D700A4 0E93D5B2
	v_mfma_i32_16x16x32_i8 v[164:167], a[180:181], v[236:237], v[164:167]// 0000000073DC: D3D700A4 0E93D9B4
	v_mfma_i32_16x16x32_i8 v[164:167], a[182:183], v[238:239], v[164:167]// 0000000073E4: D3D700A4 0E93DDB6
	v_mfma_i32_16x16x32_i8 v[164:167], a[184:185], v[240:241], v[164:167]// 0000000073EC: D3D700A4 0E93E1B8
	buffer_load_dwordx4 a[76:79], v38, s[24:27], 0 offen offset:3072// 0000000073F4: E05C1C00 80864C26
	v_mfma_i32_16x16x32_i8 v[164:167], a[186:187], v[242:243], v[164:167]// 0000000073FC: D3D700A4 0E93E5BA
	v_mfma_i32_16x16x32_i8 v[164:167], a[188:189], v[244:245], v[164:167]// 000000007404: D3D700A4 0E93E9BC
	v_mfma_i32_16x16x32_i8 v[164:167], a[190:191], v[246:247], v[164:167]// 00000000740C: D3D700A4 0E93EDBE
	s_waitcnt vmcnt(32)                                        // 000000007414: BF8C8F70
	v_mfma_i32_16x16x32_i8 v[168:171], a[192:193], v[216:217], v[168:171]// 000000007418: D3D700A8 0EA3B1C0
	buffer_load_dwordx4 a[80:83], v39, s[24:27], 0 offen       // 000000007420: E05C1000 80865027
	v_mfma_i32_16x16x32_i8 v[168:171], a[194:195], v[218:219], v[168:171]// 000000007428: D3D700A8 0EA3B5C2
	v_mfma_i32_16x16x32_i8 v[168:171], a[196:197], v[220:221], v[168:171]// 000000007430: D3D700A8 0EA3B9C4
	v_mfma_i32_16x16x32_i8 v[168:171], a[198:199], v[222:223], v[168:171]// 000000007438: D3D700A8 0EA3BDC6
	v_mfma_i32_16x16x32_i8 v[168:171], a[200:201], v[224:225], v[168:171]// 000000007440: D3D700A8 0EA3C1C8
	buffer_load_dwordx4 a[84:87], v39, s[24:27], 0 offen offset:1024// 000000007448: E05C1400 80865427
	v_mfma_i32_16x16x32_i8 v[168:171], a[202:203], v[226:227], v[168:171]// 000000007450: D3D700A8 0EA3C5CA
	v_mfma_i32_16x16x32_i8 v[168:171], a[204:205], v[228:229], v[168:171]// 000000007458: D3D700A8 0EA3C9CC
	v_mfma_i32_16x16x32_i8 v[168:171], a[206:207], v[230:231], v[168:171]// 000000007460: D3D700A8 0EA3CDCE
	v_mfma_i32_16x16x32_i8 v[172:175], a[192:193], v[232:233], v[172:175]// 000000007468: D3D700AC 0EB3D1C0
	buffer_load_dwordx4 a[88:91], v39, s[24:27], 0 offen offset:2048// 000000007470: E05C1800 80865827
	v_mfma_i32_16x16x32_i8 v[172:175], a[194:195], v[234:235], v[172:175]// 000000007478: D3D700AC 0EB3D5C2
	v_mfma_i32_16x16x32_i8 v[172:175], a[196:197], v[236:237], v[172:175]// 000000007480: D3D700AC 0EB3D9C4
	v_mfma_i32_16x16x32_i8 v[172:175], a[198:199], v[238:239], v[172:175]// 000000007488: D3D700AC 0EB3DDC6
	v_mfma_i32_16x16x32_i8 v[172:175], a[200:201], v[240:241], v[172:175]// 000000007490: D3D700AC 0EB3E1C8
	buffer_load_dwordx4 a[92:95], v39, s[24:27], 0 offen offset:3072// 000000007498: E05C1C00 80865C27
	v_mfma_i32_16x16x32_i8 v[172:175], a[202:203], v[242:243], v[172:175]// 0000000074A0: D3D700AC 0EB3E5CA
	v_mfma_i32_16x16x32_i8 v[172:175], a[204:205], v[244:245], v[172:175]// 0000000074A8: D3D700AC 0EB3E9CC
	v_mfma_i32_16x16x32_i8 v[172:175], a[206:207], v[246:247], v[172:175]// 0000000074B0: D3D700AC 0EB3EDCE
	s_waitcnt vmcnt(32)                                        // 0000000074B8: BF8C8F70
	v_mfma_i32_16x16x32_i8 v[176:179], a[208:209], v[216:217], v[176:179]// 0000000074BC: D3D700B0 0EC3B1D0
	buffer_load_dwordx4 a[96:99], v40, s[24:27], 0 offen       // 0000000074C4: E05C1000 80866028
	v_mfma_i32_16x16x32_i8 v[176:179], a[210:211], v[218:219], v[176:179]// 0000000074CC: D3D700B0 0EC3B5D2
	v_mfma_i32_16x16x32_i8 v[176:179], a[212:213], v[220:221], v[176:179]// 0000000074D4: D3D700B0 0EC3B9D4
	v_mfma_i32_16x16x32_i8 v[176:179], a[214:215], v[222:223], v[176:179]// 0000000074DC: D3D700B0 0EC3BDD6
	v_mfma_i32_16x16x32_i8 v[176:179], a[216:217], v[224:225], v[176:179]// 0000000074E4: D3D700B0 0EC3C1D8
	buffer_load_dwordx4 a[100:103], v40, s[24:27], 0 offen offset:1024// 0000000074EC: E05C1400 80866428
	v_mfma_i32_16x16x32_i8 v[176:179], a[218:219], v[226:227], v[176:179]// 0000000074F4: D3D700B0 0EC3C5DA
	v_mfma_i32_16x16x32_i8 v[176:179], a[220:221], v[228:229], v[176:179]// 0000000074FC: D3D700B0 0EC3C9DC
	v_mfma_i32_16x16x32_i8 v[176:179], a[222:223], v[230:231], v[176:179]// 000000007504: D3D700B0 0EC3CDDE
	v_mfma_i32_16x16x32_i8 v[180:183], a[208:209], v[232:233], v[180:183]// 00000000750C: D3D700B4 0ED3D1D0
	buffer_load_dwordx4 a[104:107], v40, s[24:27], 0 offen offset:2048// 000000007514: E05C1800 80866828
	v_mfma_i32_16x16x32_i8 v[180:183], a[210:211], v[234:235], v[180:183]// 00000000751C: D3D700B4 0ED3D5D2
	v_mfma_i32_16x16x32_i8 v[180:183], a[212:213], v[236:237], v[180:183]// 000000007524: D3D700B4 0ED3D9D4
	v_mfma_i32_16x16x32_i8 v[180:183], a[214:215], v[238:239], v[180:183]// 00000000752C: D3D700B4 0ED3DDD6
	v_mfma_i32_16x16x32_i8 v[180:183], a[216:217], v[240:241], v[180:183]// 000000007534: D3D700B4 0ED3E1D8
	buffer_load_dwordx4 a[108:111], v40, s[24:27], 0 offen offset:3072// 00000000753C: E05C1C00 80866C28
	v_mfma_i32_16x16x32_i8 v[180:183], a[218:219], v[242:243], v[180:183]// 000000007544: D3D700B4 0ED3E5DA
	v_mfma_i32_16x16x32_i8 v[180:183], a[220:221], v[244:245], v[180:183]// 00000000754C: D3D700B4 0ED3E9DC
	v_mfma_i32_16x16x32_i8 v[180:183], a[222:223], v[246:247], v[180:183]// 000000007554: D3D700B4 0ED3EDDE
	s_add_u32 s60, 0x300, s80                                  // 00000000755C: 803C50FF 00000300
	s_cmp_lt_u32 s60, s81                                      // 000000007564: BF0A513C
	s_cselect_b32 s57, s57, 0                                  // 000000007568: 85398039
	s_add_u32 s60, 0x200, s80                                  // 00000000756C: 803C50FF 00000200
	s_cmp_lt_u32 s60, s81                                      // 000000007574: BF0A513C
	s_cselect_b32 s58, s58, 0                                  // 000000007578: 853A803A
	s_add_u32 s20, s57, s20                                    // 00000000757C: 80141439
	s_addc_u32 s21, 0, s21                                     // 000000007580: 82151580
	s_add_u32 s24, s58, s24                                    // 000000007584: 8018183A
	s_addc_u32 s25, 0, s25                                     // 000000007588: 82191980
	s_addk_i32 s80, 0x100                                      // 00000000758C: B7500100
	s_cmp_lt_i32 s80, s81                                      // 000000007590: BF045150
	s_cbranch_scc0 label_11E7                                  // 000000007594: BF840001
	s_branch label_0F2C                                        // 000000007598: BF82FD45

000000000000759c <label_11E7>:
	s_mov_b32 s36, -1                                          // 00000000759C: BEA400C1
	s_mov_b32 s37, -1                                          // 0000000075A0: BEA500C1
	s_mov_b64 s[60:61], 0                                      // 0000000075A4: BEBC0180
	s_cmp_lt_u32 s82, s66                                      // 0000000075A8: BF0A4252
	s_cselect_b64 s[20:21], s[36:37], s[60:61]                 // 0000000075AC: 85943C24
	s_cmp_lt_u32 s83, s66                                      // 0000000075B0: BF0A4253
	s_cselect_b64 s[22:23], s[36:37], s[60:61]                 // 0000000075B4: 85963C24
	s_cmp_lt_u32 s84, s66                                      // 0000000075B8: BF0A4254
	s_cselect_b64 s[24:25], s[36:37], s[60:61]                 // 0000000075BC: 85983C24
	s_cmp_lt_u32 s85, s66                                      // 0000000075C0: BF0A4255
	s_cselect_b64 s[26:27], s[36:37], s[60:61]                 // 0000000075C4: 859A3C24
	s_cmp_lt_u32 s86, s66                                      // 0000000075C8: BF0A4256
	s_cselect_b64 s[28:29], s[36:37], s[60:61]                 // 0000000075CC: 859C3C24
	s_cmp_lt_u32 s87, s66                                      // 0000000075D0: BF0A4257
	s_cselect_b64 s[30:31], s[36:37], s[60:61]                 // 0000000075D4: 859E3C24
	s_cmp_lt_u32 s88, s66                                      // 0000000075D8: BF0A4258
	s_cselect_b64 s[32:33], s[36:37], s[60:61]                 // 0000000075DC: 85A03C24
	s_cmp_lt_u32 s89, s66                                      // 0000000075E0: BF0A4259
	s_cselect_b64 s[34:35], s[36:37], s[60:61]                 // 0000000075E4: 85A23C24
	v_cvt_f32_i32_e32 v128, v128                               // 0000000075E8: 7F000B80
	v_cvt_f32_i32_e32 v129, v129                               // 0000000075EC: 7F020B81
	v_cvt_f32_i32_e32 v130, v130                               // 0000000075F0: 7F040B82
	v_cvt_f32_i32_e32 v131, v131                               // 0000000075F4: 7F060B83
	v_mul_f32_e32 v128, v14, v128                              // 0000000075F8: 0B01010E
	v_mul_f32_e32 v129, v14, v129                              // 0000000075FC: 0B03030E
	v_mul_f32_e32 v130, v14, v130                              // 000000007600: 0B05050E
	v_mul_f32_e32 v131, v14, v131                              // 000000007604: 0B07070E
	v_mul_f32_dpp v128, v16, v128 row_newbcast:0 row_mask:0xf bank_mask:0xf// 000000007608: 0B0100FA FF015010
	v_mul_f32_dpp v129, v16, v129 row_newbcast:1 row_mask:0xf bank_mask:0xf// 000000007610: 0B0302FA FF015110
	v_mul_f32_dpp v130, v16, v130 row_newbcast:2 row_mask:0xf bank_mask:0xf// 000000007618: 0B0504FA FF015210
	v_mul_f32_dpp v131, v16, v131 row_newbcast:3 row_mask:0xf bank_mask:0xf// 000000007620: 0B0706FA FF015310
	v_cvt_f32_i32_e32 v132, v132                               // 000000007628: 7F080B84
	v_cvt_f32_i32_e32 v133, v133                               // 00000000762C: 7F0A0B85
	v_cvt_f32_i32_e32 v134, v134                               // 000000007630: 7F0C0B86
	v_cvt_f32_i32_e32 v135, v135                               // 000000007634: 7F0E0B87
	v_mul_f32_e32 v132, v15, v132                              // 000000007638: 0B09090F
	v_mul_f32_e32 v133, v15, v133                              // 00000000763C: 0B0B0B0F
	v_mul_f32_e32 v134, v15, v134                              // 000000007640: 0B0D0D0F
	v_mul_f32_e32 v135, v15, v135                              // 000000007644: 0B0F0F0F
	v_mul_f32_dpp v132, v16, v132 row_newbcast:0 row_mask:0xf bank_mask:0xf// 000000007648: 0B0908FA FF015010
	v_mul_f32_dpp v133, v16, v133 row_newbcast:1 row_mask:0xf bank_mask:0xf// 000000007650: 0B0B0AFA FF015110
	v_mul_f32_dpp v134, v16, v134 row_newbcast:2 row_mask:0xf bank_mask:0xf// 000000007658: 0B0D0CFA FF015210
	v_mul_f32_dpp v135, v16, v135 row_newbcast:3 row_mask:0xf bank_mask:0xf// 000000007660: 0B0F0EFA FF015310
	v_cvt_f32_i32_e32 v136, v136                               // 000000007668: 7F100B88
	v_cvt_f32_i32_e32 v137, v137                               // 00000000766C: 7F120B89
	v_cvt_f32_i32_e32 v138, v138                               // 000000007670: 7F140B8A
	v_cvt_f32_i32_e32 v139, v139                               // 000000007674: 7F160B8B
	v_mul_f32_e32 v136, v14, v136                              // 000000007678: 0B11110E
	v_mul_f32_e32 v137, v14, v137                              // 00000000767C: 0B13130E
	v_mul_f32_e32 v138, v14, v138                              // 000000007680: 0B15150E
	v_mul_f32_e32 v139, v14, v139                              // 000000007684: 0B17170E
	v_mul_f32_dpp v136, v16, v136 row_newbcast:4 row_mask:0xf bank_mask:0xf// 000000007688: 0B1110FA FF015410
	v_mul_f32_dpp v137, v16, v137 row_newbcast:5 row_mask:0xf bank_mask:0xf// 000000007690: 0B1312FA FF015510
	v_mul_f32_dpp v138, v16, v138 row_newbcast:6 row_mask:0xf bank_mask:0xf// 000000007698: 0B1514FA FF015610
	v_mul_f32_dpp v139, v16, v139 row_newbcast:7 row_mask:0xf bank_mask:0xf// 0000000076A0: 0B1716FA FF015710
	v_cvt_f32_i32_e32 v140, v140                               // 0000000076A8: 7F180B8C
	v_cvt_f32_i32_e32 v141, v141                               // 0000000076AC: 7F1A0B8D
	v_cvt_f32_i32_e32 v142, v142                               // 0000000076B0: 7F1C0B8E
	v_cvt_f32_i32_e32 v143, v143                               // 0000000076B4: 7F1E0B8F
	v_mul_f32_e32 v140, v15, v140                              // 0000000076B8: 0B19190F
	v_mul_f32_e32 v141, v15, v141                              // 0000000076BC: 0B1B1B0F
	v_mul_f32_e32 v142, v15, v142                              // 0000000076C0: 0B1D1D0F
	v_mul_f32_e32 v143, v15, v143                              // 0000000076C4: 0B1F1F0F
	v_mul_f32_dpp v140, v16, v140 row_newbcast:4 row_mask:0xf bank_mask:0xf// 0000000076C8: 0B1918FA FF015410
	v_mul_f32_dpp v141, v16, v141 row_newbcast:5 row_mask:0xf bank_mask:0xf// 0000000076D0: 0B1B1AFA FF015510
	v_mul_f32_dpp v142, v16, v142 row_newbcast:6 row_mask:0xf bank_mask:0xf// 0000000076D8: 0B1D1CFA FF015610
	v_mul_f32_dpp v143, v16, v143 row_newbcast:7 row_mask:0xf bank_mask:0xf// 0000000076E0: 0B1F1EFA FF015710
	v_cvt_f32_i32_e32 v144, v144                               // 0000000076E8: 7F200B90
	v_cvt_f32_i32_e32 v145, v145                               // 0000000076EC: 7F220B91
	v_cvt_f32_i32_e32 v146, v146                               // 0000000076F0: 7F240B92
	v_cvt_f32_i32_e32 v147, v147                               // 0000000076F4: 7F260B93
	v_mul_f32_e32 v144, v14, v144                              // 0000000076F8: 0B21210E
	v_mul_f32_e32 v145, v14, v145                              // 0000000076FC: 0B23230E
	v_mul_f32_e32 v146, v14, v146                              // 000000007700: 0B25250E
	v_mul_f32_e32 v147, v14, v147                              // 000000007704: 0B27270E
	v_mul_f32_dpp v144, v16, v144 row_newbcast:8 row_mask:0xf bank_mask:0xf// 000000007708: 0B2120FA FF015810
	v_mul_f32_dpp v145, v16, v145 row_newbcast:9 row_mask:0xf bank_mask:0xf// 000000007710: 0B2322FA FF015910
	v_mul_f32_dpp v146, v16, v146 row_newbcast:10 row_mask:0xf bank_mask:0xf// 000000007718: 0B2524FA FF015A10
	v_mul_f32_dpp v147, v16, v147 row_newbcast:11 row_mask:0xf bank_mask:0xf// 000000007720: 0B2726FA FF015B10
	v_cvt_f32_i32_e32 v148, v148                               // 000000007728: 7F280B94
	v_cvt_f32_i32_e32 v149, v149                               // 00000000772C: 7F2A0B95
	v_cvt_f32_i32_e32 v150, v150                               // 000000007730: 7F2C0B96
	v_cvt_f32_i32_e32 v151, v151                               // 000000007734: 7F2E0B97
	v_mul_f32_e32 v148, v15, v148                              // 000000007738: 0B29290F
	v_mul_f32_e32 v149, v15, v149                              // 00000000773C: 0B2B2B0F
	v_mul_f32_e32 v150, v15, v150                              // 000000007740: 0B2D2D0F
	v_mul_f32_e32 v151, v15, v151                              // 000000007744: 0B2F2F0F
	v_mul_f32_dpp v148, v16, v148 row_newbcast:8 row_mask:0xf bank_mask:0xf// 000000007748: 0B2928FA FF015810
	v_mul_f32_dpp v149, v16, v149 row_newbcast:9 row_mask:0xf bank_mask:0xf// 000000007750: 0B2B2AFA FF015910
	v_mul_f32_dpp v150, v16, v150 row_newbcast:10 row_mask:0xf bank_mask:0xf// 000000007758: 0B2D2CFA FF015A10
	v_mul_f32_dpp v151, v16, v151 row_newbcast:11 row_mask:0xf bank_mask:0xf// 000000007760: 0B2F2EFA FF015B10
	v_cvt_f32_i32_e32 v152, v152                               // 000000007768: 7F300B98
	v_cvt_f32_i32_e32 v153, v153                               // 00000000776C: 7F320B99
	v_cvt_f32_i32_e32 v154, v154                               // 000000007770: 7F340B9A
	v_cvt_f32_i32_e32 v155, v155                               // 000000007774: 7F360B9B
	v_mul_f32_e32 v152, v14, v152                              // 000000007778: 0B31310E
	v_mul_f32_e32 v153, v14, v153                              // 00000000777C: 0B33330E
	v_mul_f32_e32 v154, v14, v154                              // 000000007780: 0B35350E
	v_mul_f32_e32 v155, v14, v155                              // 000000007784: 0B37370E
	v_mul_f32_dpp v152, v16, v152 row_newbcast:12 row_mask:0xf bank_mask:0xf// 000000007788: 0B3130FA FF015C10
	v_mul_f32_dpp v153, v16, v153 row_newbcast:13 row_mask:0xf bank_mask:0xf// 000000007790: 0B3332FA FF015D10
	v_mul_f32_dpp v154, v16, v154 row_newbcast:14 row_mask:0xf bank_mask:0xf// 000000007798: 0B3534FA FF015E10
	v_mul_f32_dpp v155, v16, v155 row_newbcast:15 row_mask:0xf bank_mask:0xf// 0000000077A0: 0B3736FA FF015F10
	v_cvt_f32_i32_e32 v156, v156                               // 0000000077A8: 7F380B9C
	v_cvt_f32_i32_e32 v157, v157                               // 0000000077AC: 7F3A0B9D
	v_cvt_f32_i32_e32 v158, v158                               // 0000000077B0: 7F3C0B9E
	v_cvt_f32_i32_e32 v159, v159                               // 0000000077B4: 7F3E0B9F
	v_mul_f32_e32 v156, v15, v156                              // 0000000077B8: 0B39390F
	v_mul_f32_e32 v157, v15, v157                              // 0000000077BC: 0B3B3B0F
	v_mul_f32_e32 v158, v15, v158                              // 0000000077C0: 0B3D3D0F
	v_mul_f32_e32 v159, v15, v159                              // 0000000077C4: 0B3F3F0F
	v_mul_f32_dpp v156, v16, v156 row_newbcast:12 row_mask:0xf bank_mask:0xf// 0000000077C8: 0B3938FA FF015C10
	v_mul_f32_dpp v157, v16, v157 row_newbcast:13 row_mask:0xf bank_mask:0xf// 0000000077D0: 0B3B3AFA FF015D10
	v_mul_f32_dpp v158, v16, v158 row_newbcast:14 row_mask:0xf bank_mask:0xf// 0000000077D8: 0B3D3CFA FF015E10
	v_mul_f32_dpp v159, v16, v159 row_newbcast:15 row_mask:0xf bank_mask:0xf// 0000000077E0: 0B3F3EFA FF015F10
	v_cvt_f32_i32_e32 v160, v160                               // 0000000077E8: 7F400BA0
	v_cvt_f32_i32_e32 v161, v161                               // 0000000077EC: 7F420BA1
	v_cvt_f32_i32_e32 v162, v162                               // 0000000077F0: 7F440BA2
	v_cvt_f32_i32_e32 v163, v163                               // 0000000077F4: 7F460BA3
	v_mul_f32_e32 v160, v14, v160                              // 0000000077F8: 0B41410E
	v_mul_f32_e32 v161, v14, v161                              // 0000000077FC: 0B43430E
	v_mul_f32_e32 v162, v14, v162                              // 000000007800: 0B45450E
	v_mul_f32_e32 v163, v14, v163                              // 000000007804: 0B47470E
	v_mul_f32_dpp v160, v17, v160 row_newbcast:0 row_mask:0xf bank_mask:0xf// 000000007808: 0B4140FA FF015011
	v_mul_f32_dpp v161, v17, v161 row_newbcast:1 row_mask:0xf bank_mask:0xf// 000000007810: 0B4342FA FF015111
	v_mul_f32_dpp v162, v17, v162 row_newbcast:2 row_mask:0xf bank_mask:0xf// 000000007818: 0B4544FA FF015211
	v_mul_f32_dpp v163, v17, v163 row_newbcast:3 row_mask:0xf bank_mask:0xf// 000000007820: 0B4746FA FF015311
	v_cvt_f32_i32_e32 v164, v164                               // 000000007828: 7F480BA4
	v_cvt_f32_i32_e32 v165, v165                               // 00000000782C: 7F4A0BA5
	v_cvt_f32_i32_e32 v166, v166                               // 000000007830: 7F4C0BA6
	v_cvt_f32_i32_e32 v167, v167                               // 000000007834: 7F4E0BA7
	v_mul_f32_e32 v164, v15, v164                              // 000000007838: 0B49490F
	v_mul_f32_e32 v165, v15, v165                              // 00000000783C: 0B4B4B0F
	v_mul_f32_e32 v166, v15, v166                              // 000000007840: 0B4D4D0F
	v_mul_f32_e32 v167, v15, v167                              // 000000007844: 0B4F4F0F
	v_mul_f32_dpp v164, v17, v164 row_newbcast:0 row_mask:0xf bank_mask:0xf// 000000007848: 0B4948FA FF015011
	v_mul_f32_dpp v165, v17, v165 row_newbcast:1 row_mask:0xf bank_mask:0xf// 000000007850: 0B4B4AFA FF015111
	v_mul_f32_dpp v166, v17, v166 row_newbcast:2 row_mask:0xf bank_mask:0xf// 000000007858: 0B4D4CFA FF015211
	v_mul_f32_dpp v167, v17, v167 row_newbcast:3 row_mask:0xf bank_mask:0xf// 000000007860: 0B4F4EFA FF015311
	v_cvt_f32_i32_e32 v168, v168                               // 000000007868: 7F500BA8
	v_cvt_f32_i32_e32 v169, v169                               // 00000000786C: 7F520BA9
	v_cvt_f32_i32_e32 v170, v170                               // 000000007870: 7F540BAA
	v_cvt_f32_i32_e32 v171, v171                               // 000000007874: 7F560BAB
	v_mul_f32_e32 v168, v14, v168                              // 000000007878: 0B51510E
	v_mul_f32_e32 v169, v14, v169                              // 00000000787C: 0B53530E
	v_mul_f32_e32 v170, v14, v170                              // 000000007880: 0B55550E
	v_mul_f32_e32 v171, v14, v171                              // 000000007884: 0B57570E
	v_mul_f32_dpp v168, v17, v168 row_newbcast:4 row_mask:0xf bank_mask:0xf// 000000007888: 0B5150FA FF015411
	v_mul_f32_dpp v169, v17, v169 row_newbcast:5 row_mask:0xf bank_mask:0xf// 000000007890: 0B5352FA FF015511
	v_mul_f32_dpp v170, v17, v170 row_newbcast:6 row_mask:0xf bank_mask:0xf// 000000007898: 0B5554FA FF015611
	v_mul_f32_dpp v171, v17, v171 row_newbcast:7 row_mask:0xf bank_mask:0xf// 0000000078A0: 0B5756FA FF015711
	v_cvt_f32_i32_e32 v172, v172                               // 0000000078A8: 7F580BAC
	v_cvt_f32_i32_e32 v173, v173                               // 0000000078AC: 7F5A0BAD
	v_cvt_f32_i32_e32 v174, v174                               // 0000000078B0: 7F5C0BAE
	v_cvt_f32_i32_e32 v175, v175                               // 0000000078B4: 7F5E0BAF
	v_mul_f32_e32 v172, v15, v172                              // 0000000078B8: 0B59590F
	v_mul_f32_e32 v173, v15, v173                              // 0000000078BC: 0B5B5B0F
	v_mul_f32_e32 v174, v15, v174                              // 0000000078C0: 0B5D5D0F
	v_mul_f32_e32 v175, v15, v175                              // 0000000078C4: 0B5F5F0F
	v_mul_f32_dpp v172, v17, v172 row_newbcast:4 row_mask:0xf bank_mask:0xf// 0000000078C8: 0B5958FA FF015411
	v_mul_f32_dpp v173, v17, v173 row_newbcast:5 row_mask:0xf bank_mask:0xf// 0000000078D0: 0B5B5AFA FF015511
	v_mul_f32_dpp v174, v17, v174 row_newbcast:6 row_mask:0xf bank_mask:0xf// 0000000078D8: 0B5D5CFA FF015611
	v_mul_f32_dpp v175, v17, v175 row_newbcast:7 row_mask:0xf bank_mask:0xf// 0000000078E0: 0B5F5EFA FF015711
	v_cvt_f32_i32_e32 v176, v176                               // 0000000078E8: 7F600BB0
	v_cvt_f32_i32_e32 v177, v177                               // 0000000078EC: 7F620BB1
	v_cvt_f32_i32_e32 v178, v178                               // 0000000078F0: 7F640BB2
	v_cvt_f32_i32_e32 v179, v179                               // 0000000078F4: 7F660BB3
	v_mul_f32_e32 v176, v14, v176                              // 0000000078F8: 0B61610E
	v_mul_f32_e32 v177, v14, v177                              // 0000000078FC: 0B63630E
	v_mul_f32_e32 v178, v14, v178                              // 000000007900: 0B65650E
	v_mul_f32_e32 v179, v14, v179                              // 000000007904: 0B67670E
	v_mul_f32_dpp v176, v17, v176 row_newbcast:8 row_mask:0xf bank_mask:0xf// 000000007908: 0B6160FA FF015811
	v_mul_f32_dpp v177, v17, v177 row_newbcast:9 row_mask:0xf bank_mask:0xf// 000000007910: 0B6362FA FF015911
	v_mul_f32_dpp v178, v17, v178 row_newbcast:10 row_mask:0xf bank_mask:0xf// 000000007918: 0B6564FA FF015A11
	v_mul_f32_dpp v179, v17, v179 row_newbcast:11 row_mask:0xf bank_mask:0xf// 000000007920: 0B6766FA FF015B11
	v_cvt_f32_i32_e32 v180, v180                               // 000000007928: 7F680BB4
	v_cvt_f32_i32_e32 v181, v181                               // 00000000792C: 7F6A0BB5
	v_cvt_f32_i32_e32 v182, v182                               // 000000007930: 7F6C0BB6
	v_cvt_f32_i32_e32 v183, v183                               // 000000007934: 7F6E0BB7
	v_mul_f32_e32 v180, v15, v180                              // 000000007938: 0B69690F
	v_mul_f32_e32 v181, v15, v181                              // 00000000793C: 0B6B6B0F
	v_mul_f32_e32 v182, v15, v182                              // 000000007940: 0B6D6D0F
	v_mul_f32_e32 v183, v15, v183                              // 000000007944: 0B6F6F0F
	v_mul_f32_dpp v180, v17, v180 row_newbcast:8 row_mask:0xf bank_mask:0xf// 000000007948: 0B6968FA FF015811
	v_mul_f32_dpp v181, v17, v181 row_newbcast:9 row_mask:0xf bank_mask:0xf// 000000007950: 0B6B6AFA FF015911
	v_mul_f32_dpp v182, v17, v182 row_newbcast:10 row_mask:0xf bank_mask:0xf// 000000007958: 0B6D6CFA FF015A11
	v_mul_f32_dpp v183, v17, v183 row_newbcast:11 row_mask:0xf bank_mask:0xf// 000000007960: 0B6F6EFA FF015B11
	s_waitcnt vmcnt(24)                                        // 000000007968: BF8C4F78
	buffer_load_dwordx4 a[0:3], v41, s[12:15], 0 offen         // 00000000796C: E05C1000 80830029
	v_mul_f32_e64 v50, -v128, s6                               // 000000007974: D1050032 20000D80
	v_mul_f32_e64 v51, -v129, s6                               // 00000000797C: D1050033 20000D81
	v_mul_f32_e64 v52, -v130, s6                               // 000000007984: D1050034 20000D82
	v_mul_f32_e64 v53, -v131, s6                               // 00000000798C: D1050035 20000D83
	v_exp_f32_e32 v50, v50                                     // 000000007994: 7E644132
	v_exp_f32_e32 v51, v51                                     // 000000007998: 7E664133
	v_exp_f32_e32 v52, v52                                     // 00000000799C: 7E684134
	v_exp_f32_e32 v53, v53                                     // 0000000079A0: 7E6A4135
	buffer_load_dwordx4 a[4:7], v42, s[12:15], 0 offen         // 0000000079A4: E05C1000 8083042A
	v_add_f32_e64 v50, v50, 1.0                                // 0000000079AC: D1010032 0001E532
	v_add_f32_e64 v51, v51, 1.0                                // 0000000079B4: D1010033 0001E533
	v_add_f32_e64 v52, v52, 1.0                                // 0000000079BC: D1010034 0001E534
	v_add_f32_e64 v53, v53, 1.0                                // 0000000079C4: D1010035 0001E535
	v_rcp_f32_e32 v50, v50                                     // 0000000079CC: 7E644532
	v_rcp_f32_e32 v51, v51                                     // 0000000079D0: 7E664533
	v_rcp_f32_e32 v52, v52                                     // 0000000079D4: 7E684534
	v_rcp_f32_e32 v53, v53                                     // 0000000079D8: 7E6A4535
	v_mul_f32_e32 v128, v128, v50                              // 0000000079DC: 0B006580
	v_mul_f32_e32 v129, v129, v51                              // 0000000079E0: 0B026781
	v_mul_f32_e32 v130, v130, v52                              // 0000000079E4: 0B046982
	v_mul_f32_e32 v131, v131, v53                              // 0000000079E8: 0B066B83
	buffer_load_dwordx4 a[8:11], v43, s[12:15], 0 offen        // 0000000079EC: E05C1000 8083082B
	v_mul_f32_e64 v50, -v132, s6                               // 0000000079F4: D1050032 20000D84
	v_mul_f32_e64 v51, -v133, s6                               // 0000000079FC: D1050033 20000D85
	v_mul_f32_e64 v52, -v134, s6                               // 000000007A04: D1050034 20000D86
	v_mul_f32_e64 v53, -v135, s6                               // 000000007A0C: D1050035 20000D87
	v_exp_f32_e32 v50, v50                                     // 000000007A14: 7E644132
	v_exp_f32_e32 v51, v51                                     // 000000007A18: 7E664133
	v_exp_f32_e32 v52, v52                                     // 000000007A1C: 7E684134
	v_exp_f32_e32 v53, v53                                     // 000000007A20: 7E6A4135
	buffer_load_dwordx4 a[12:15], v44, s[12:15], 0 offen       // 000000007A24: E05C1000 80830C2C
	s_add_u32 s12, s78, s12                                    // 000000007A2C: 800C0C4E
	s_addc_u32 s13, 0, s13                                     // 000000007A30: 820D0D80
	v_add_f32_e64 v50, v50, 1.0                                // 000000007A34: D1010032 0001E532
	v_add_f32_e64 v51, v51, 1.0                                // 000000007A3C: D1010033 0001E533
	v_add_f32_e64 v52, v52, 1.0                                // 000000007A44: D1010034 0001E534
	v_add_f32_e64 v53, v53, 1.0                                // 000000007A4C: D1010035 0001E535
	v_rcp_f32_e32 v50, v50                                     // 000000007A54: 7E644532
	v_rcp_f32_e32 v51, v51                                     // 000000007A58: 7E664533
	v_rcp_f32_e32 v52, v52                                     // 000000007A5C: 7E684534
	v_rcp_f32_e32 v53, v53                                     // 000000007A60: 7E6A4535
	v_mul_f32_e32 v132, v132, v50                              // 000000007A64: 0B086584
	v_mul_f32_e32 v133, v133, v51                              // 000000007A68: 0B0A6785
	v_mul_f32_e32 v134, v134, v52                              // 000000007A6C: 0B0C6986
	v_mul_f32_e32 v135, v135, v53                              // 000000007A70: 0B0E6B87
	s_waitcnt vmcnt(24)                                        // 000000007A74: BF8C4F78
	buffer_load_dwordx4 a[16:19], v41, s[12:15], 0 offen       // 000000007A78: E05C1000 80831029
	v_mul_f32_e64 v50, -v136, s6                               // 000000007A80: D1050032 20000D88
	v_mul_f32_e64 v51, -v137, s6                               // 000000007A88: D1050033 20000D89
	v_mul_f32_e64 v52, -v138, s6                               // 000000007A90: D1050034 20000D8A
	v_mul_f32_e64 v53, -v139, s6                               // 000000007A98: D1050035 20000D8B
	v_exp_f32_e32 v50, v50                                     // 000000007AA0: 7E644132
	v_exp_f32_e32 v51, v51                                     // 000000007AA4: 7E664133
	v_exp_f32_e32 v52, v52                                     // 000000007AA8: 7E684134
	v_exp_f32_e32 v53, v53                                     // 000000007AAC: 7E6A4135
	buffer_load_dwordx4 a[20:23], v42, s[12:15], 0 offen       // 000000007AB0: E05C1000 8083142A
	v_add_f32_e64 v50, v50, 1.0                                // 000000007AB8: D1010032 0001E532
	v_add_f32_e64 v51, v51, 1.0                                // 000000007AC0: D1010033 0001E533
	v_add_f32_e64 v52, v52, 1.0                                // 000000007AC8: D1010034 0001E534
	v_add_f32_e64 v53, v53, 1.0                                // 000000007AD0: D1010035 0001E535
	v_rcp_f32_e32 v50, v50                                     // 000000007AD8: 7E644532
	v_rcp_f32_e32 v51, v51                                     // 000000007ADC: 7E664533
	v_rcp_f32_e32 v52, v52                                     // 000000007AE0: 7E684534
	v_rcp_f32_e32 v53, v53                                     // 000000007AE4: 7E6A4535
	v_mul_f32_e32 v136, v136, v50                              // 000000007AE8: 0B106588
	v_mul_f32_e32 v137, v137, v51                              // 000000007AEC: 0B126789
	v_mul_f32_e32 v138, v138, v52                              // 000000007AF0: 0B14698A
	v_mul_f32_e32 v139, v139, v53                              // 000000007AF4: 0B166B8B
	buffer_load_dwordx4 a[24:27], v43, s[12:15], 0 offen       // 000000007AF8: E05C1000 8083182B
	v_mul_f32_e64 v50, -v140, s6                               // 000000007B00: D1050032 20000D8C
	v_mul_f32_e64 v51, -v141, s6                               // 000000007B08: D1050033 20000D8D
	v_mul_f32_e64 v52, -v142, s6                               // 000000007B10: D1050034 20000D8E
	v_mul_f32_e64 v53, -v143, s6                               // 000000007B18: D1050035 20000D8F
	v_exp_f32_e32 v50, v50                                     // 000000007B20: 7E644132
	v_exp_f32_e32 v51, v51                                     // 000000007B24: 7E664133
	v_exp_f32_e32 v52, v52                                     // 000000007B28: 7E684134
	v_exp_f32_e32 v53, v53                                     // 000000007B2C: 7E6A4135
	buffer_load_dwordx4 a[28:31], v44, s[12:15], 0 offen       // 000000007B30: E05C1000 80831C2C
	s_add_u32 s12, s78, s12                                    // 000000007B38: 800C0C4E
	s_addc_u32 s13, 0, s13                                     // 000000007B3C: 820D0D80
	v_add_f32_e64 v50, v50, 1.0                                // 000000007B40: D1010032 0001E532
	v_add_f32_e64 v51, v51, 1.0                                // 000000007B48: D1010033 0001E533
	v_add_f32_e64 v52, v52, 1.0                                // 000000007B50: D1010034 0001E534
	v_add_f32_e64 v53, v53, 1.0                                // 000000007B58: D1010035 0001E535
	v_rcp_f32_e32 v50, v50                                     // 000000007B60: 7E644532
	v_rcp_f32_e32 v51, v51                                     // 000000007B64: 7E664533
	v_rcp_f32_e32 v52, v52                                     // 000000007B68: 7E684534
	v_rcp_f32_e32 v53, v53                                     // 000000007B6C: 7E6A4535
	v_mul_f32_e32 v140, v140, v50                              // 000000007B70: 0B18658C
	v_mul_f32_e32 v141, v141, v51                              // 000000007B74: 0B1A678D
	v_mul_f32_e32 v142, v142, v52                              // 000000007B78: 0B1C698E
	v_mul_f32_e32 v143, v143, v53                              // 000000007B7C: 0B1E6B8F
	s_waitcnt vmcnt(24)                                        // 000000007B80: BF8C4F78
	buffer_load_dwordx4 a[32:35], v41, s[12:15], 0 offen       // 000000007B84: E05C1000 80832029
	v_mul_f32_e64 v50, -v144, s6                               // 000000007B8C: D1050032 20000D90
	v_mul_f32_e64 v51, -v145, s6                               // 000000007B94: D1050033 20000D91
	v_mul_f32_e64 v52, -v146, s6                               // 000000007B9C: D1050034 20000D92
	v_mul_f32_e64 v53, -v147, s6                               // 000000007BA4: D1050035 20000D93
	v_exp_f32_e32 v50, v50                                     // 000000007BAC: 7E644132
	v_exp_f32_e32 v51, v51                                     // 000000007BB0: 7E664133
	v_exp_f32_e32 v52, v52                                     // 000000007BB4: 7E684134
	v_exp_f32_e32 v53, v53                                     // 000000007BB8: 7E6A4135
	buffer_load_dwordx4 a[36:39], v42, s[12:15], 0 offen       // 000000007BBC: E05C1000 8083242A
	v_add_f32_e64 v50, v50, 1.0                                // 000000007BC4: D1010032 0001E532
	v_add_f32_e64 v51, v51, 1.0                                // 000000007BCC: D1010033 0001E533
	v_add_f32_e64 v52, v52, 1.0                                // 000000007BD4: D1010034 0001E534
	v_add_f32_e64 v53, v53, 1.0                                // 000000007BDC: D1010035 0001E535
	v_rcp_f32_e32 v50, v50                                     // 000000007BE4: 7E644532
	v_rcp_f32_e32 v51, v51                                     // 000000007BE8: 7E664533
	v_rcp_f32_e32 v52, v52                                     // 000000007BEC: 7E684534
	v_rcp_f32_e32 v53, v53                                     // 000000007BF0: 7E6A4535
	v_mul_f32_e32 v144, v144, v50                              // 000000007BF4: 0B206590
	v_mul_f32_e32 v145, v145, v51                              // 000000007BF8: 0B226791
	v_mul_f32_e32 v146, v146, v52                              // 000000007BFC: 0B246992
	v_mul_f32_e32 v147, v147, v53                              // 000000007C00: 0B266B93
	buffer_load_dwordx4 a[40:43], v43, s[12:15], 0 offen       // 000000007C04: E05C1000 8083282B
	v_mul_f32_e64 v50, -v148, s6                               // 000000007C0C: D1050032 20000D94
	v_mul_f32_e64 v51, -v149, s6                               // 000000007C14: D1050033 20000D95
	v_mul_f32_e64 v52, -v150, s6                               // 000000007C1C: D1050034 20000D96
	v_mul_f32_e64 v53, -v151, s6                               // 000000007C24: D1050035 20000D97
	v_exp_f32_e32 v50, v50                                     // 000000007C2C: 7E644132
	v_exp_f32_e32 v51, v51                                     // 000000007C30: 7E664133
	v_exp_f32_e32 v52, v52                                     // 000000007C34: 7E684134
	v_exp_f32_e32 v53, v53                                     // 000000007C38: 7E6A4135
	buffer_load_dwordx4 a[44:47], v44, s[12:15], 0 offen       // 000000007C3C: E05C1000 80832C2C
	s_add_u32 s12, s78, s12                                    // 000000007C44: 800C0C4E
	s_addc_u32 s13, 0, s13                                     // 000000007C48: 820D0D80
	v_add_f32_e64 v50, v50, 1.0                                // 000000007C4C: D1010032 0001E532
	v_add_f32_e64 v51, v51, 1.0                                // 000000007C54: D1010033 0001E533
	v_add_f32_e64 v52, v52, 1.0                                // 000000007C5C: D1010034 0001E534
	v_add_f32_e64 v53, v53, 1.0                                // 000000007C64: D1010035 0001E535
	v_rcp_f32_e32 v50, v50                                     // 000000007C6C: 7E644532
	v_rcp_f32_e32 v51, v51                                     // 000000007C70: 7E664533
	v_rcp_f32_e32 v52, v52                                     // 000000007C74: 7E684534
	v_rcp_f32_e32 v53, v53                                     // 000000007C78: 7E6A4535
	v_mul_f32_e32 v148, v148, v50                              // 000000007C7C: 0B286594
	v_mul_f32_e32 v149, v149, v51                              // 000000007C80: 0B2A6795
	v_mul_f32_e32 v150, v150, v52                              // 000000007C84: 0B2C6996
	v_mul_f32_e32 v151, v151, v53                              // 000000007C88: 0B2E6B97
	s_waitcnt vmcnt(24)                                        // 000000007C8C: BF8C4F78
	buffer_load_dwordx4 a[48:51], v41, s[12:15], 0 offen       // 000000007C90: E05C1000 80833029
	v_mul_f32_e64 v50, -v152, s6                               // 000000007C98: D1050032 20000D98
	v_mul_f32_e64 v51, -v153, s6                               // 000000007CA0: D1050033 20000D99
	v_mul_f32_e64 v52, -v154, s6                               // 000000007CA8: D1050034 20000D9A
	v_mul_f32_e64 v53, -v155, s6                               // 000000007CB0: D1050035 20000D9B
	v_exp_f32_e32 v50, v50                                     // 000000007CB8: 7E644132
	v_exp_f32_e32 v51, v51                                     // 000000007CBC: 7E664133
	v_exp_f32_e32 v52, v52                                     // 000000007CC0: 7E684134
	v_exp_f32_e32 v53, v53                                     // 000000007CC4: 7E6A4135
	buffer_load_dwordx4 a[52:55], v42, s[12:15], 0 offen       // 000000007CC8: E05C1000 8083342A
	v_add_f32_e64 v50, v50, 1.0                                // 000000007CD0: D1010032 0001E532
	v_add_f32_e64 v51, v51, 1.0                                // 000000007CD8: D1010033 0001E533
	v_add_f32_e64 v52, v52, 1.0                                // 000000007CE0: D1010034 0001E534
	v_add_f32_e64 v53, v53, 1.0                                // 000000007CE8: D1010035 0001E535
	v_rcp_f32_e32 v50, v50                                     // 000000007CF0: 7E644532
	v_rcp_f32_e32 v51, v51                                     // 000000007CF4: 7E664533
	v_rcp_f32_e32 v52, v52                                     // 000000007CF8: 7E684534
	v_rcp_f32_e32 v53, v53                                     // 000000007CFC: 7E6A4535
	v_mul_f32_e32 v152, v152, v50                              // 000000007D00: 0B306598
	v_mul_f32_e32 v153, v153, v51                              // 000000007D04: 0B326799
	v_mul_f32_e32 v154, v154, v52                              // 000000007D08: 0B34699A
	v_mul_f32_e32 v155, v155, v53                              // 000000007D0C: 0B366B9B
	buffer_load_dwordx4 a[56:59], v43, s[12:15], 0 offen       // 000000007D10: E05C1000 8083382B
	v_mul_f32_e64 v50, -v156, s6                               // 000000007D18: D1050032 20000D9C
	v_mul_f32_e64 v51, -v157, s6                               // 000000007D20: D1050033 20000D9D
	v_mul_f32_e64 v52, -v158, s6                               // 000000007D28: D1050034 20000D9E
	v_mul_f32_e64 v53, -v159, s6                               // 000000007D30: D1050035 20000D9F
	v_exp_f32_e32 v50, v50                                     // 000000007D38: 7E644132
	v_exp_f32_e32 v51, v51                                     // 000000007D3C: 7E664133
	v_exp_f32_e32 v52, v52                                     // 000000007D40: 7E684134
	v_exp_f32_e32 v53, v53                                     // 000000007D44: 7E6A4135
	buffer_load_dwordx4 a[60:63], v44, s[12:15], 0 offen       // 000000007D48: E05C1000 80833C2C
	s_add_u32 s12, s78, s12                                    // 000000007D50: 800C0C4E
	s_addc_u32 s13, 0, s13                                     // 000000007D54: 820D0D80
	v_add_f32_e64 v50, v50, 1.0                                // 000000007D58: D1010032 0001E532
	v_add_f32_e64 v51, v51, 1.0                                // 000000007D60: D1010033 0001E533
	v_add_f32_e64 v52, v52, 1.0                                // 000000007D68: D1010034 0001E534
	v_add_f32_e64 v53, v53, 1.0                                // 000000007D70: D1010035 0001E535
	v_rcp_f32_e32 v50, v50                                     // 000000007D78: 7E644532
	v_rcp_f32_e32 v51, v51                                     // 000000007D7C: 7E664533
	v_rcp_f32_e32 v52, v52                                     // 000000007D80: 7E684534
	v_rcp_f32_e32 v53, v53                                     // 000000007D84: 7E6A4535
	v_mul_f32_e32 v156, v156, v50                              // 000000007D88: 0B38659C
	v_mul_f32_e32 v157, v157, v51                              // 000000007D8C: 0B3A679D
	v_mul_f32_e32 v158, v158, v52                              // 000000007D90: 0B3C699E
	v_mul_f32_e32 v159, v159, v53                              // 000000007D94: 0B3E6B9F
	s_waitcnt vmcnt(24)                                        // 000000007D98: BF8C4F78
	buffer_load_dwordx4 a[64:67], v41, s[12:15], 0 offen       // 000000007D9C: E05C1000 80834029
	v_mul_f32_e64 v50, -v160, s6                               // 000000007DA4: D1050032 20000DA0
	v_mul_f32_e64 v51, -v161, s6                               // 000000007DAC: D1050033 20000DA1
	v_mul_f32_e64 v52, -v162, s6                               // 000000007DB4: D1050034 20000DA2
	v_mul_f32_e64 v53, -v163, s6                               // 000000007DBC: D1050035 20000DA3
	v_exp_f32_e32 v50, v50                                     // 000000007DC4: 7E644132
	v_exp_f32_e32 v51, v51                                     // 000000007DC8: 7E664133
	v_exp_f32_e32 v52, v52                                     // 000000007DCC: 7E684134
	v_exp_f32_e32 v53, v53                                     // 000000007DD0: 7E6A4135
	buffer_load_dwordx4 a[68:71], v42, s[12:15], 0 offen       // 000000007DD4: E05C1000 8083442A
	v_add_f32_e64 v50, v50, 1.0                                // 000000007DDC: D1010032 0001E532
	v_add_f32_e64 v51, v51, 1.0                                // 000000007DE4: D1010033 0001E533
	v_add_f32_e64 v52, v52, 1.0                                // 000000007DEC: D1010034 0001E534
	v_add_f32_e64 v53, v53, 1.0                                // 000000007DF4: D1010035 0001E535
	v_rcp_f32_e32 v50, v50                                     // 000000007DFC: 7E644532
	v_rcp_f32_e32 v51, v51                                     // 000000007E00: 7E664533
	v_rcp_f32_e32 v52, v52                                     // 000000007E04: 7E684534
	v_rcp_f32_e32 v53, v53                                     // 000000007E08: 7E6A4535
	v_mul_f32_e32 v160, v160, v50                              // 000000007E0C: 0B4065A0
	v_mul_f32_e32 v161, v161, v51                              // 000000007E10: 0B4267A1
	v_mul_f32_e32 v162, v162, v52                              // 000000007E14: 0B4469A2
	v_mul_f32_e32 v163, v163, v53                              // 000000007E18: 0B466BA3
	buffer_load_dwordx4 a[72:75], v43, s[12:15], 0 offen       // 000000007E1C: E05C1000 8083482B
	v_mul_f32_e64 v50, -v164, s6                               // 000000007E24: D1050032 20000DA4
	v_mul_f32_e64 v51, -v165, s6                               // 000000007E2C: D1050033 20000DA5
	v_mul_f32_e64 v52, -v166, s6                               // 000000007E34: D1050034 20000DA6
	v_mul_f32_e64 v53, -v167, s6                               // 000000007E3C: D1050035 20000DA7
	v_exp_f32_e32 v50, v50                                     // 000000007E44: 7E644132
	v_exp_f32_e32 v51, v51                                     // 000000007E48: 7E664133
	v_exp_f32_e32 v52, v52                                     // 000000007E4C: 7E684134
	v_exp_f32_e32 v53, v53                                     // 000000007E50: 7E6A4135
	buffer_load_dwordx4 a[76:79], v44, s[12:15], 0 offen       // 000000007E54: E05C1000 80834C2C
	s_add_u32 s12, s78, s12                                    // 000000007E5C: 800C0C4E
	s_addc_u32 s13, 0, s13                                     // 000000007E60: 820D0D80
	v_add_f32_e64 v50, v50, 1.0                                // 000000007E64: D1010032 0001E532
	v_add_f32_e64 v51, v51, 1.0                                // 000000007E6C: D1010033 0001E533
	v_add_f32_e64 v52, v52, 1.0                                // 000000007E74: D1010034 0001E534
	v_add_f32_e64 v53, v53, 1.0                                // 000000007E7C: D1010035 0001E535
	v_rcp_f32_e32 v50, v50                                     // 000000007E84: 7E644532
	v_rcp_f32_e32 v51, v51                                     // 000000007E88: 7E664533
	v_rcp_f32_e32 v52, v52                                     // 000000007E8C: 7E684534
	v_rcp_f32_e32 v53, v53                                     // 000000007E90: 7E6A4535
	v_mul_f32_e32 v164, v164, v50                              // 000000007E94: 0B4865A4
	v_mul_f32_e32 v165, v165, v51                              // 000000007E98: 0B4A67A5
	v_mul_f32_e32 v166, v166, v52                              // 000000007E9C: 0B4C69A6
	v_mul_f32_e32 v167, v167, v53                              // 000000007EA0: 0B4E6BA7
	s_waitcnt vmcnt(24)                                        // 000000007EA4: BF8C4F78
	buffer_load_dwordx4 a[80:83], v41, s[12:15], 0 offen       // 000000007EA8: E05C1000 80835029
	v_mul_f32_e64 v50, -v168, s6                               // 000000007EB0: D1050032 20000DA8
	v_mul_f32_e64 v51, -v169, s6                               // 000000007EB8: D1050033 20000DA9
	v_mul_f32_e64 v52, -v170, s6                               // 000000007EC0: D1050034 20000DAA
	v_mul_f32_e64 v53, -v171, s6                               // 000000007EC8: D1050035 20000DAB
	v_exp_f32_e32 v50, v50                                     // 000000007ED0: 7E644132
	v_exp_f32_e32 v51, v51                                     // 000000007ED4: 7E664133
	v_exp_f32_e32 v52, v52                                     // 000000007ED8: 7E684134
	v_exp_f32_e32 v53, v53                                     // 000000007EDC: 7E6A4135
	buffer_load_dwordx4 a[84:87], v42, s[12:15], 0 offen       // 000000007EE0: E05C1000 8083542A
	v_add_f32_e64 v50, v50, 1.0                                // 000000007EE8: D1010032 0001E532
	v_add_f32_e64 v51, v51, 1.0                                // 000000007EF0: D1010033 0001E533
	v_add_f32_e64 v52, v52, 1.0                                // 000000007EF8: D1010034 0001E534
	v_add_f32_e64 v53, v53, 1.0                                // 000000007F00: D1010035 0001E535
	v_rcp_f32_e32 v50, v50                                     // 000000007F08: 7E644532
	v_rcp_f32_e32 v51, v51                                     // 000000007F0C: 7E664533
	v_rcp_f32_e32 v52, v52                                     // 000000007F10: 7E684534
	v_rcp_f32_e32 v53, v53                                     // 000000007F14: 7E6A4535
	v_mul_f32_e32 v168, v168, v50                              // 000000007F18: 0B5065A8
	v_mul_f32_e32 v169, v169, v51                              // 000000007F1C: 0B5267A9
	v_mul_f32_e32 v170, v170, v52                              // 000000007F20: 0B5469AA
	v_mul_f32_e32 v171, v171, v53                              // 000000007F24: 0B566BAB
	buffer_load_dwordx4 a[88:91], v43, s[12:15], 0 offen       // 000000007F28: E05C1000 8083582B
	v_mul_f32_e64 v50, -v172, s6                               // 000000007F30: D1050032 20000DAC
	v_mul_f32_e64 v51, -v173, s6                               // 000000007F38: D1050033 20000DAD
	v_mul_f32_e64 v52, -v174, s6                               // 000000007F40: D1050034 20000DAE
	v_mul_f32_e64 v53, -v175, s6                               // 000000007F48: D1050035 20000DAF
	v_exp_f32_e32 v50, v50                                     // 000000007F50: 7E644132
	v_exp_f32_e32 v51, v51                                     // 000000007F54: 7E664133
	v_exp_f32_e32 v52, v52                                     // 000000007F58: 7E684134
	v_exp_f32_e32 v53, v53                                     // 000000007F5C: 7E6A4135
	buffer_load_dwordx4 a[92:95], v44, s[12:15], 0 offen       // 000000007F60: E05C1000 80835C2C
	s_add_u32 s12, s78, s12                                    // 000000007F68: 800C0C4E
	s_addc_u32 s13, 0, s13                                     // 000000007F6C: 820D0D80
	v_add_f32_e64 v50, v50, 1.0                                // 000000007F70: D1010032 0001E532
	v_add_f32_e64 v51, v51, 1.0                                // 000000007F78: D1010033 0001E533
	v_add_f32_e64 v52, v52, 1.0                                // 000000007F80: D1010034 0001E534
	v_add_f32_e64 v53, v53, 1.0                                // 000000007F88: D1010035 0001E535
	v_rcp_f32_e32 v50, v50                                     // 000000007F90: 7E644532
	v_rcp_f32_e32 v51, v51                                     // 000000007F94: 7E664533
	v_rcp_f32_e32 v52, v52                                     // 000000007F98: 7E684534
	v_rcp_f32_e32 v53, v53                                     // 000000007F9C: 7E6A4535
	v_mul_f32_e32 v172, v172, v50                              // 000000007FA0: 0B5865AC
	v_mul_f32_e32 v173, v173, v51                              // 000000007FA4: 0B5A67AD
	v_mul_f32_e32 v174, v174, v52                              // 000000007FA8: 0B5C69AE
	v_mul_f32_e32 v175, v175, v53                              // 000000007FAC: 0B5E6BAF
	s_waitcnt vmcnt(24)                                        // 000000007FB0: BF8C4F78
	buffer_load_dwordx4 a[96:99], v41, s[12:15], 0 offen       // 000000007FB4: E05C1000 80836029
	v_mul_f32_e64 v50, -v176, s6                               // 000000007FBC: D1050032 20000DB0
	v_mul_f32_e64 v51, -v177, s6                               // 000000007FC4: D1050033 20000DB1
	v_mul_f32_e64 v52, -v178, s6                               // 000000007FCC: D1050034 20000DB2
	v_mul_f32_e64 v53, -v179, s6                               // 000000007FD4: D1050035 20000DB3
	v_exp_f32_e32 v50, v50                                     // 000000007FDC: 7E644132
	v_exp_f32_e32 v51, v51                                     // 000000007FE0: 7E664133
	v_exp_f32_e32 v52, v52                                     // 000000007FE4: 7E684134
	v_exp_f32_e32 v53, v53                                     // 000000007FE8: 7E6A4135
	buffer_load_dwordx4 a[100:103], v42, s[12:15], 0 offen     // 000000007FEC: E05C1000 8083642A
	v_add_f32_e64 v50, v50, 1.0                                // 000000007FF4: D1010032 0001E532
	v_add_f32_e64 v51, v51, 1.0                                // 000000007FFC: D1010033 0001E533
	v_add_f32_e64 v52, v52, 1.0                                // 000000008004: D1010034 0001E534
	v_add_f32_e64 v53, v53, 1.0                                // 00000000800C: D1010035 0001E535
	v_rcp_f32_e32 v50, v50                                     // 000000008014: 7E644532
	v_rcp_f32_e32 v51, v51                                     // 000000008018: 7E664533
	v_rcp_f32_e32 v52, v52                                     // 00000000801C: 7E684534
	v_rcp_f32_e32 v53, v53                                     // 000000008020: 7E6A4535
	v_mul_f32_e32 v176, v176, v50                              // 000000008024: 0B6065B0
	v_mul_f32_e32 v177, v177, v51                              // 000000008028: 0B6267B1
	v_mul_f32_e32 v178, v178, v52                              // 00000000802C: 0B6469B2
	v_mul_f32_e32 v179, v179, v53                              // 000000008030: 0B666BB3
	buffer_load_dwordx4 a[104:107], v43, s[12:15], 0 offen     // 000000008034: E05C1000 8083682B
	v_mul_f32_e64 v50, -v180, s6                               // 00000000803C: D1050032 20000DB4
	v_mul_f32_e64 v51, -v181, s6                               // 000000008044: D1050033 20000DB5
	v_mul_f32_e64 v52, -v182, s6                               // 00000000804C: D1050034 20000DB6
	v_mul_f32_e64 v53, -v183, s6                               // 000000008054: D1050035 20000DB7
	v_exp_f32_e32 v50, v50                                     // 00000000805C: 7E644132
	v_exp_f32_e32 v51, v51                                     // 000000008060: 7E664133
	v_exp_f32_e32 v52, v52                                     // 000000008064: 7E684134
	v_exp_f32_e32 v53, v53                                     // 000000008068: 7E6A4135
	buffer_load_dwordx4 a[108:111], v44, s[12:15], 0 offen     // 00000000806C: E05C1000 80836C2C
	v_add_f32_e64 v50, v50, 1.0                                // 000000008074: D1010032 0001E532
	v_add_f32_e64 v51, v51, 1.0                                // 00000000807C: D1010033 0001E533
	v_add_f32_e64 v52, v52, 1.0                                // 000000008084: D1010034 0001E534
	v_add_f32_e64 v53, v53, 1.0                                // 00000000808C: D1010035 0001E535
	v_rcp_f32_e32 v50, v50                                     // 000000008094: 7E644532
	v_rcp_f32_e32 v51, v51                                     // 000000008098: 7E664533
	v_rcp_f32_e32 v52, v52                                     // 00000000809C: 7E684534
	v_rcp_f32_e32 v53, v53                                     // 0000000080A0: 7E6A4535
	v_mul_f32_e32 v180, v180, v50                              // 0000000080A4: 0B6865B4
	v_mul_f32_e32 v181, v181, v51                              // 0000000080A8: 0B6A67B5
	v_mul_f32_e32 v182, v182, v52                              // 0000000080AC: 0B6C69B6
	v_mul_f32_e32 v183, v183, v53                              // 0000000080B0: 0B6E6BB7
	v_mul_f32_dpp v128, v18, v128 row_newbcast:0 row_mask:0xf bank_mask:0xf// 0000000080B4: 0B0100FA FF015012
	v_mul_f32_dpp v129, v18, v129 row_newbcast:1 row_mask:0xf bank_mask:0xf// 0000000080BC: 0B0302FA FF015112
	v_mul_f32_dpp v130, v18, v130 row_newbcast:2 row_mask:0xf bank_mask:0xf// 0000000080C4: 0B0504FA FF015212
	v_mul_f32_dpp v131, v18, v131 row_newbcast:3 row_mask:0xf bank_mask:0xf// 0000000080CC: 0B0706FA FF015312
	v_mul_f32_dpp v132, v18, v132 row_newbcast:0 row_mask:0xf bank_mask:0xf// 0000000080D4: 0B0908FA FF015012
	v_mul_f32_dpp v133, v18, v133 row_newbcast:1 row_mask:0xf bank_mask:0xf// 0000000080DC: 0B0B0AFA FF015112
	v_mul_f32_dpp v134, v18, v134 row_newbcast:2 row_mask:0xf bank_mask:0xf// 0000000080E4: 0B0D0CFA FF015212
	v_mul_f32_dpp v135, v18, v135 row_newbcast:3 row_mask:0xf bank_mask:0xf// 0000000080EC: 0B0F0EFA FF015312
	v_mul_f32_dpp v136, v18, v136 row_newbcast:4 row_mask:0xf bank_mask:0xf// 0000000080F4: 0B1110FA FF015412
	v_mul_f32_dpp v137, v18, v137 row_newbcast:5 row_mask:0xf bank_mask:0xf// 0000000080FC: 0B1312FA FF015512
	v_mul_f32_dpp v138, v18, v138 row_newbcast:6 row_mask:0xf bank_mask:0xf// 000000008104: 0B1514FA FF015612
	v_mul_f32_dpp v139, v18, v139 row_newbcast:7 row_mask:0xf bank_mask:0xf// 00000000810C: 0B1716FA FF015712
	v_mul_f32_dpp v140, v18, v140 row_newbcast:4 row_mask:0xf bank_mask:0xf// 000000008114: 0B1918FA FF015412
	v_mul_f32_dpp v141, v18, v141 row_newbcast:5 row_mask:0xf bank_mask:0xf// 00000000811C: 0B1B1AFA FF015512
	v_mul_f32_dpp v142, v18, v142 row_newbcast:6 row_mask:0xf bank_mask:0xf// 000000008124: 0B1D1CFA FF015612
	v_mul_f32_dpp v143, v18, v143 row_newbcast:7 row_mask:0xf bank_mask:0xf// 00000000812C: 0B1F1EFA FF015712
	v_mul_f32_dpp v144, v18, v144 row_newbcast:8 row_mask:0xf bank_mask:0xf// 000000008134: 0B2120FA FF015812
	v_mul_f32_dpp v145, v18, v145 row_newbcast:9 row_mask:0xf bank_mask:0xf// 00000000813C: 0B2322FA FF015912
	v_mul_f32_dpp v146, v18, v146 row_newbcast:10 row_mask:0xf bank_mask:0xf// 000000008144: 0B2524FA FF015A12
	v_mul_f32_dpp v147, v18, v147 row_newbcast:11 row_mask:0xf bank_mask:0xf// 00000000814C: 0B2726FA FF015B12
	v_mul_f32_dpp v148, v18, v148 row_newbcast:8 row_mask:0xf bank_mask:0xf// 000000008154: 0B2928FA FF015812
	v_mul_f32_dpp v149, v18, v149 row_newbcast:9 row_mask:0xf bank_mask:0xf// 00000000815C: 0B2B2AFA FF015912
	v_mul_f32_dpp v150, v18, v150 row_newbcast:10 row_mask:0xf bank_mask:0xf// 000000008164: 0B2D2CFA FF015A12
	v_mul_f32_dpp v151, v18, v151 row_newbcast:11 row_mask:0xf bank_mask:0xf// 00000000816C: 0B2F2EFA FF015B12
	v_mul_f32_dpp v152, v18, v152 row_newbcast:12 row_mask:0xf bank_mask:0xf// 000000008174: 0B3130FA FF015C12
	v_mul_f32_dpp v153, v18, v153 row_newbcast:13 row_mask:0xf bank_mask:0xf// 00000000817C: 0B3332FA FF015D12
	v_mul_f32_dpp v154, v18, v154 row_newbcast:14 row_mask:0xf bank_mask:0xf// 000000008184: 0B3534FA FF015E12
	v_mul_f32_dpp v155, v18, v155 row_newbcast:15 row_mask:0xf bank_mask:0xf// 00000000818C: 0B3736FA FF015F12
	v_mul_f32_dpp v156, v18, v156 row_newbcast:12 row_mask:0xf bank_mask:0xf// 000000008194: 0B3938FA FF015C12
	v_mul_f32_dpp v157, v18, v157 row_newbcast:13 row_mask:0xf bank_mask:0xf// 00000000819C: 0B3B3AFA FF015D12
	v_mul_f32_dpp v158, v18, v158 row_newbcast:14 row_mask:0xf bank_mask:0xf// 0000000081A4: 0B3D3CFA FF015E12
	v_mul_f32_dpp v159, v18, v159 row_newbcast:15 row_mask:0xf bank_mask:0xf// 0000000081AC: 0B3F3EFA FF015F12
	v_mul_f32_dpp v160, v19, v160 row_newbcast:0 row_mask:0xf bank_mask:0xf// 0000000081B4: 0B4140FA FF015013
	v_mul_f32_dpp v161, v19, v161 row_newbcast:1 row_mask:0xf bank_mask:0xf// 0000000081BC: 0B4342FA FF015113
	v_mul_f32_dpp v162, v19, v162 row_newbcast:2 row_mask:0xf bank_mask:0xf// 0000000081C4: 0B4544FA FF015213
	v_mul_f32_dpp v163, v19, v163 row_newbcast:3 row_mask:0xf bank_mask:0xf// 0000000081CC: 0B4746FA FF015313
	v_mul_f32_dpp v164, v19, v164 row_newbcast:0 row_mask:0xf bank_mask:0xf// 0000000081D4: 0B4948FA FF015013
	v_mul_f32_dpp v165, v19, v165 row_newbcast:1 row_mask:0xf bank_mask:0xf// 0000000081DC: 0B4B4AFA FF015113
	v_mul_f32_dpp v166, v19, v166 row_newbcast:2 row_mask:0xf bank_mask:0xf// 0000000081E4: 0B4D4CFA FF015213
	v_mul_f32_dpp v167, v19, v167 row_newbcast:3 row_mask:0xf bank_mask:0xf// 0000000081EC: 0B4F4EFA FF015313
	v_mul_f32_dpp v168, v19, v168 row_newbcast:4 row_mask:0xf bank_mask:0xf// 0000000081F4: 0B5150FA FF015413
	v_mul_f32_dpp v169, v19, v169 row_newbcast:5 row_mask:0xf bank_mask:0xf// 0000000081FC: 0B5352FA FF015513
	v_mul_f32_dpp v170, v19, v170 row_newbcast:6 row_mask:0xf bank_mask:0xf// 000000008204: 0B5554FA FF015613
	v_mul_f32_dpp v171, v19, v171 row_newbcast:7 row_mask:0xf bank_mask:0xf// 00000000820C: 0B5756FA FF015713
	v_mul_f32_dpp v172, v19, v172 row_newbcast:4 row_mask:0xf bank_mask:0xf// 000000008214: 0B5958FA FF015413
	v_mul_f32_dpp v173, v19, v173 row_newbcast:5 row_mask:0xf bank_mask:0xf// 00000000821C: 0B5B5AFA FF015513
	v_mul_f32_dpp v174, v19, v174 row_newbcast:6 row_mask:0xf bank_mask:0xf// 000000008224: 0B5D5CFA FF015613
	v_mul_f32_dpp v175, v19, v175 row_newbcast:7 row_mask:0xf bank_mask:0xf// 00000000822C: 0B5F5EFA FF015713
	v_mul_f32_dpp v176, v19, v176 row_newbcast:8 row_mask:0xf bank_mask:0xf// 000000008234: 0B6160FA FF015813
	v_mul_f32_dpp v177, v19, v177 row_newbcast:9 row_mask:0xf bank_mask:0xf// 00000000823C: 0B6362FA FF015913
	v_mul_f32_dpp v178, v19, v178 row_newbcast:10 row_mask:0xf bank_mask:0xf// 000000008244: 0B6564FA FF015A13
	v_mul_f32_dpp v179, v19, v179 row_newbcast:11 row_mask:0xf bank_mask:0xf// 00000000824C: 0B6766FA FF015B13
	v_mul_f32_dpp v180, v19, v180 row_newbcast:8 row_mask:0xf bank_mask:0xf// 000000008254: 0B6968FA FF015813
	v_mul_f32_dpp v181, v19, v181 row_newbcast:9 row_mask:0xf bank_mask:0xf// 00000000825C: 0B6B6AFA FF015913
	v_mul_f32_dpp v182, v19, v182 row_newbcast:10 row_mask:0xf bank_mask:0xf// 000000008264: 0B6D6CFA FF015A13
	v_mul_f32_dpp v183, v19, v183 row_newbcast:11 row_mask:0xf bank_mask:0xf// 00000000826C: 0B6F6EFA FF015B13
	buffer_load_dword v12, v5, s[16:19], 0 offen               // 000000008274: E0501000 80040C05
	v_mov_b32_e32 v22, 0x358637bd                              // 00000000827C: 7E2C02FF 358637BD
	v_mov_b32_e32 v23, 0x358637bd                              // 000000008284: 7E2E02FF 358637BD
	v_max3_f32 v22, |v128|, |v129|, v22                        // 00000000828C: D1D30316 045B0380
	v_max3_f32 v22, |v130|, |v131|, v22                        // 000000008294: D1D30316 045B0782
	v_max3_f32 v23, |v132|, |v133|, v23                        // 00000000829C: D1D30317 045F0B84
	v_max3_f32 v23, |v134|, |v135|, v23                        // 0000000082A4: D1D30317 045F0F86
	v_max3_f32 v22, |v136|, |v137|, v22                        // 0000000082AC: D1D30316 045B1388
	v_max3_f32 v22, |v138|, |v139|, v22                        // 0000000082B4: D1D30316 045B178A
	v_max3_f32 v23, |v140|, |v141|, v23                        // 0000000082BC: D1D30317 045F1B8C
	v_max3_f32 v23, |v142|, |v143|, v23                        // 0000000082C4: D1D30317 045F1F8E
	v_max3_f32 v22, |v144|, |v145|, v22                        // 0000000082CC: D1D30316 045B2390
	v_max3_f32 v22, |v146|, |v147|, v22                        // 0000000082D4: D1D30316 045B2792
	v_max3_f32 v23, |v148|, |v149|, v23                        // 0000000082DC: D1D30317 045F2B94
	v_max3_f32 v23, |v150|, |v151|, v23                        // 0000000082E4: D1D30317 045F2F96
	v_max3_f32 v22, |v152|, |v153|, v22                        // 0000000082EC: D1D30316 045B3398
	v_max3_f32 v22, |v154|, |v155|, v22                        // 0000000082F4: D1D30316 045B379A
	v_max3_f32 v23, |v156|, |v157|, v23                        // 0000000082FC: D1D30317 045F3B9C
	v_max3_f32 v23, |v158|, |v159|, v23                        // 000000008304: D1D30317 045F3F9E
	v_max3_f32 v22, |v160|, |v161|, v22                        // 00000000830C: D1D30316 045B43A0
	v_max3_f32 v22, |v162|, |v163|, v22                        // 000000008314: D1D30316 045B47A2
	v_max3_f32 v23, |v164|, |v165|, v23                        // 00000000831C: D1D30317 045F4BA4
	v_max3_f32 v23, |v166|, |v167|, v23                        // 000000008324: D1D30317 045F4FA6
	v_max3_f32 v22, |v168|, |v169|, v22                        // 00000000832C: D1D30316 045B53A8
	v_max3_f32 v22, |v170|, |v171|, v22                        // 000000008334: D1D30316 045B57AA
	v_max3_f32 v23, |v172|, |v173|, v23                        // 00000000833C: D1D30317 045F5BAC
	v_max3_f32 v23, |v174|, |v175|, v23                        // 000000008344: D1D30317 045F5FAE
	v_max3_f32 v22, |v176|, |v177|, v22                        // 00000000834C: D1D30316 045B63B0
	v_max3_f32 v22, |v178|, |v179|, v22                        // 000000008354: D1D30316 045B67B2
	v_max3_f32 v23, |v180|, |v181|, v23                        // 00000000835C: D1D30317 045F6BB4
	v_max3_f32 v23, |v182|, |v183|, v23                        // 000000008364: D1D30317 045F6FB6
	v_lshlrev_b32_e32 v50, 3, v0                               // 00000000836C: 24640083
	s_mul_i32 s60, 0x200, s7                                   // 000000008370: 923C07FF 00000200
	v_add_u32_e32 v50, s60, v50                                // 000000008378: 6864643C
	ds_write_b64 v50, v[22:23] offset:16640                    // 00000000837C: D89A4100 00001632
	s_waitcnt lgkmcnt(0)                                       // 000000008384: BF8CC07F
	s_barrier                                                  // 000000008388: BF8A0000
	v_and_b32_e32 v50, 15, v0                                  // 00000000838C: 2664008F
	v_lshlrev_b32_e32 v50, 3, v50                              // 000000008390: 24646483
	ds_read_b64 v[96:97], v50 offset:16640                     // 000000008394: D8EC4100 60000032
	ds_read_b64 v[98:99], v50 offset:16768                     // 00000000839C: D8EC4180 62000032
	ds_read_b64 v[100:101], v50 offset:16896                   // 0000000083A4: D8EC4200 64000032
	ds_read_b64 v[102:103], v50 offset:17024                   // 0000000083AC: D8EC4280 66000032
	ds_read_b64 v[104:105], v50 offset:17152                   // 0000000083B4: D8EC4300 68000032
	ds_read_b64 v[106:107], v50 offset:17280                   // 0000000083BC: D8EC4380 6A000032
	ds_read_b64 v[108:109], v50 offset:17408                   // 0000000083C4: D8EC4400 6C000032
	ds_read_b64 v[110:111], v50 offset:17536                   // 0000000083CC: D8EC4480 6E000032
	ds_read_b64 v[112:113], v50 offset:17664                   // 0000000083D4: D8EC4500 70000032
	ds_read_b64 v[114:115], v50 offset:17792                   // 0000000083DC: D8EC4580 72000032
	ds_read_b64 v[116:117], v50 offset:17920                   // 0000000083E4: D8EC4600 74000032
	ds_read_b64 v[118:119], v50 offset:18048                   // 0000000083EC: D8EC4680 76000032
	ds_read_b64 v[120:121], v50 offset:18176                   // 0000000083F4: D8EC4700 78000032
	ds_read_b64 v[122:123], v50 offset:18304                   // 0000000083FC: D8EC4780 7A000032
	ds_read_b64 v[124:125], v50 offset:18432                   // 000000008404: D8EC4800 7C000032
	ds_read_b64 v[126:127], v50 offset:18560                   // 00000000840C: D8EC4880 7E000032
	s_waitcnt lgkmcnt(0)                                       // 000000008414: BF8CC07F
	v_max3_f32 v22, |v96|, |v98|, v22                          // 000000008418: D1D30316 045AC560
	v_max3_f32 v23, |v97|, |v99|, v23                          // 000000008420: D1D30317 045EC761
	v_max3_f32 v22, |v100|, |v102|, v22                        // 000000008428: D1D30316 045ACD64
	v_max3_f32 v23, |v101|, |v103|, v23                        // 000000008430: D1D30317 045ECF65
	v_max3_f32 v22, |v104|, |v106|, v22                        // 000000008438: D1D30316 045AD568
	v_max3_f32 v23, |v105|, |v107|, v23                        // 000000008440: D1D30317 045ED769
	v_max3_f32 v22, |v108|, |v110|, v22                        // 000000008448: D1D30316 045ADD6C
	v_max3_f32 v23, |v109|, |v111|, v23                        // 000000008450: D1D30317 045EDF6D
	v_max3_f32 v22, |v112|, |v114|, v22                        // 000000008458: D1D30316 045AE570
	v_max3_f32 v23, |v113|, |v115|, v23                        // 000000008460: D1D30317 045EE771
	v_max3_f32 v22, |v116|, |v118|, v22                        // 000000008468: D1D30316 045AED74
	v_max3_f32 v23, |v117|, |v119|, v23                        // 000000008470: D1D30317 045EEF75
	v_max3_f32 v22, |v120|, |v122|, v22                        // 000000008478: D1D30316 045AF578
	v_max3_f32 v23, |v121|, |v123|, v23                        // 000000008480: D1D30317 045EF779
	v_max3_f32 v22, |v124|, |v126|, v22                        // 000000008488: D1D30316 045AFD7C
	v_max3_f32 v23, |v125|, |v127|, v23                        // 000000008490: D1D30317 045EFF7D
	v_rcp_f32_e32 v22, v22                                     // 000000008498: 7E2C4516
	v_rcp_f32_e32 v23, v23                                     // 00000000849C: 7E2E4517
	v_mul_f32_e32 v22, 0x42fe0000, v22                         // 0000000084A0: 0A2C2CFF 42FE0000
	v_mul_f32_e32 v23, 0x42fe0000, v23                         // 0000000084A8: 0A2E2EFF 42FE0000
	v_mul_f32_e32 v128, v22, v128                              // 0000000084B0: 0B010116
	v_mul_f32_e32 v129, v22, v129                              // 0000000084B4: 0B030316
	v_mul_f32_e32 v130, v22, v130                              // 0000000084B8: 0B050516
	v_mul_f32_e32 v131, v22, v131                              // 0000000084BC: 0B070716
	v_cvt_i32_f32_e32 v128, v128                               // 0000000084C0: 7F001180
	v_cvt_i32_f32_e32 v129, v129                               // 0000000084C4: 7F021181
	v_cvt_i32_f32_e32 v130, v130                               // 0000000084C8: 7F041182
	v_cvt_i32_f32_e32 v131, v131                               // 0000000084CC: 7F061183
	v_perm_b32 v128, v129, v128, s53                           // 0000000084D0: D1ED0080 00D70181
	v_perm_b32 v128, v130, v128, s54                           // 0000000084D8: D1ED0080 00DB0182
	v_perm_b32 v128, v131, v128, s55                           // 0000000084E0: D1ED0080 00DF0183
	v_mul_f32_e32 v132, v23, v132                              // 0000000084E8: 0B090917
	v_mul_f32_e32 v133, v23, v133                              // 0000000084EC: 0B0B0B17
	v_mul_f32_e32 v134, v23, v134                              // 0000000084F0: 0B0D0D17
	v_mul_f32_e32 v135, v23, v135                              // 0000000084F4: 0B0F0F17
	v_cvt_i32_f32_e32 v132, v132                               // 0000000084F8: 7F081184
	v_cvt_i32_f32_e32 v133, v133                               // 0000000084FC: 7F0A1185
	v_cvt_i32_f32_e32 v134, v134                               // 000000008500: 7F0C1186
	v_cvt_i32_f32_e32 v135, v135                               // 000000008504: 7F0E1187
	v_perm_b32 v129, v133, v132, s53                           // 000000008508: D1ED0081 00D70985
	v_perm_b32 v129, v134, v129, s54                           // 000000008510: D1ED0081 00DB0386
	v_perm_b32 v129, v135, v129, s55                           // 000000008518: D1ED0081 00DF0387
	v_mul_f32_e32 v136, v22, v136                              // 000000008520: 0B111116
	v_mul_f32_e32 v137, v22, v137                              // 000000008524: 0B131316
	v_mul_f32_e32 v138, v22, v138                              // 000000008528: 0B151516
	v_mul_f32_e32 v139, v22, v139                              // 00000000852C: 0B171716
	v_cvt_i32_f32_e32 v136, v136                               // 000000008530: 7F101188
	v_cvt_i32_f32_e32 v137, v137                               // 000000008534: 7F121189
	v_cvt_i32_f32_e32 v138, v138                               // 000000008538: 7F14118A
	v_cvt_i32_f32_e32 v139, v139                               // 00000000853C: 7F16118B
	v_perm_b32 v130, v137, v136, s53                           // 000000008540: D1ED0082 00D71189
	v_perm_b32 v130, v138, v130, s54                           // 000000008548: D1ED0082 00DB058A
	v_perm_b32 v130, v139, v130, s55                           // 000000008550: D1ED0082 00DF058B
	v_mul_f32_e32 v140, v23, v140                              // 000000008558: 0B191917
	v_mul_f32_e32 v141, v23, v141                              // 00000000855C: 0B1B1B17
	v_mul_f32_e32 v142, v23, v142                              // 000000008560: 0B1D1D17
	v_mul_f32_e32 v143, v23, v143                              // 000000008564: 0B1F1F17
	v_cvt_i32_f32_e32 v140, v140                               // 000000008568: 7F18118C
	v_cvt_i32_f32_e32 v141, v141                               // 00000000856C: 7F1A118D
	v_cvt_i32_f32_e32 v142, v142                               // 000000008570: 7F1C118E
	v_cvt_i32_f32_e32 v143, v143                               // 000000008574: 7F1E118F
	v_perm_b32 v131, v141, v140, s53                           // 000000008578: D1ED0083 00D7198D
	v_perm_b32 v131, v142, v131, s54                           // 000000008580: D1ED0083 00DB078E
	v_perm_b32 v131, v143, v131, s55                           // 000000008588: D1ED0083 00DF078F
	v_mul_f32_e32 v144, v22, v144                              // 000000008590: 0B212116
	v_mul_f32_e32 v145, v22, v145                              // 000000008594: 0B232316
	v_mul_f32_e32 v146, v22, v146                              // 000000008598: 0B252516
	v_mul_f32_e32 v147, v22, v147                              // 00000000859C: 0B272716
	v_cvt_i32_f32_e32 v144, v144                               // 0000000085A0: 7F201190
	v_cvt_i32_f32_e32 v145, v145                               // 0000000085A4: 7F221191
	v_cvt_i32_f32_e32 v146, v146                               // 0000000085A8: 7F241192
	v_cvt_i32_f32_e32 v147, v147                               // 0000000085AC: 7F261193
	v_perm_b32 v132, v145, v144, s53                           // 0000000085B0: D1ED0084 00D72191
	v_perm_b32 v132, v146, v132, s54                           // 0000000085B8: D1ED0084 00DB0992
	v_perm_b32 v132, v147, v132, s55                           // 0000000085C0: D1ED0084 00DF0993
	v_mul_f32_e32 v148, v23, v148                              // 0000000085C8: 0B292917
	v_mul_f32_e32 v149, v23, v149                              // 0000000085CC: 0B2B2B17
	v_mul_f32_e32 v150, v23, v150                              // 0000000085D0: 0B2D2D17
	v_mul_f32_e32 v151, v23, v151                              // 0000000085D4: 0B2F2F17
	v_cvt_i32_f32_e32 v148, v148                               // 0000000085D8: 7F281194
	v_cvt_i32_f32_e32 v149, v149                               // 0000000085DC: 7F2A1195
	v_cvt_i32_f32_e32 v150, v150                               // 0000000085E0: 7F2C1196
	v_cvt_i32_f32_e32 v151, v151                               // 0000000085E4: 7F2E1197
	v_perm_b32 v133, v149, v148, s53                           // 0000000085E8: D1ED0085 00D72995
	v_perm_b32 v133, v150, v133, s54                           // 0000000085F0: D1ED0085 00DB0B96
	v_perm_b32 v133, v151, v133, s55                           // 0000000085F8: D1ED0085 00DF0B97
	v_mul_f32_e32 v152, v22, v152                              // 000000008600: 0B313116
	v_mul_f32_e32 v153, v22, v153                              // 000000008604: 0B333316
	v_mul_f32_e32 v154, v22, v154                              // 000000008608: 0B353516
	v_mul_f32_e32 v155, v22, v155                              // 00000000860C: 0B373716
	v_cvt_i32_f32_e32 v152, v152                               // 000000008610: 7F301198
	v_cvt_i32_f32_e32 v153, v153                               // 000000008614: 7F321199
	v_cvt_i32_f32_e32 v154, v154                               // 000000008618: 7F34119A
	v_cvt_i32_f32_e32 v155, v155                               // 00000000861C: 7F36119B
	v_perm_b32 v134, v153, v152, s53                           // 000000008620: D1ED0086 00D73199
	v_perm_b32 v134, v154, v134, s54                           // 000000008628: D1ED0086 00DB0D9A
	v_perm_b32 v134, v155, v134, s55                           // 000000008630: D1ED0086 00DF0D9B
	v_mul_f32_e32 v156, v23, v156                              // 000000008638: 0B393917
	v_mul_f32_e32 v157, v23, v157                              // 00000000863C: 0B3B3B17
	v_mul_f32_e32 v158, v23, v158                              // 000000008640: 0B3D3D17
	v_mul_f32_e32 v159, v23, v159                              // 000000008644: 0B3F3F17
	v_cvt_i32_f32_e32 v156, v156                               // 000000008648: 7F38119C
	v_cvt_i32_f32_e32 v157, v157                               // 00000000864C: 7F3A119D
	v_cvt_i32_f32_e32 v158, v158                               // 000000008650: 7F3C119E
	v_cvt_i32_f32_e32 v159, v159                               // 000000008654: 7F3E119F
	v_perm_b32 v135, v157, v156, s53                           // 000000008658: D1ED0087 00D7399D
	v_perm_b32 v135, v158, v135, s54                           // 000000008660: D1ED0087 00DB0F9E
	v_perm_b32 v135, v159, v135, s55                           // 000000008668: D1ED0087 00DF0F9F
	v_mul_f32_e32 v160, v22, v160                              // 000000008670: 0B414116
	v_mul_f32_e32 v161, v22, v161                              // 000000008674: 0B434316
	v_mul_f32_e32 v162, v22, v162                              // 000000008678: 0B454516
	v_mul_f32_e32 v163, v22, v163                              // 00000000867C: 0B474716
	v_cvt_i32_f32_e32 v160, v160                               // 000000008680: 7F4011A0
	v_cvt_i32_f32_e32 v161, v161                               // 000000008684: 7F4211A1
	v_cvt_i32_f32_e32 v162, v162                               // 000000008688: 7F4411A2
	v_cvt_i32_f32_e32 v163, v163                               // 00000000868C: 7F4611A3
	v_perm_b32 v136, v161, v160, s53                           // 000000008690: D1ED0088 00D741A1
	v_perm_b32 v136, v162, v136, s54                           // 000000008698: D1ED0088 00DB11A2
	v_perm_b32 v136, v163, v136, s55                           // 0000000086A0: D1ED0088 00DF11A3
	v_mul_f32_e32 v164, v23, v164                              // 0000000086A8: 0B494917
	v_mul_f32_e32 v165, v23, v165                              // 0000000086AC: 0B4B4B17
	v_mul_f32_e32 v166, v23, v166                              // 0000000086B0: 0B4D4D17
	v_mul_f32_e32 v167, v23, v167                              // 0000000086B4: 0B4F4F17
	v_cvt_i32_f32_e32 v164, v164                               // 0000000086B8: 7F4811A4
	v_cvt_i32_f32_e32 v165, v165                               // 0000000086BC: 7F4A11A5
	v_cvt_i32_f32_e32 v166, v166                               // 0000000086C0: 7F4C11A6
	v_cvt_i32_f32_e32 v167, v167                               // 0000000086C4: 7F4E11A7
	v_perm_b32 v137, v165, v164, s53                           // 0000000086C8: D1ED0089 00D749A5
	v_perm_b32 v137, v166, v137, s54                           // 0000000086D0: D1ED0089 00DB13A6
	v_perm_b32 v137, v167, v137, s55                           // 0000000086D8: D1ED0089 00DF13A7
	v_mul_f32_e32 v168, v22, v168                              // 0000000086E0: 0B515116
	v_mul_f32_e32 v169, v22, v169                              // 0000000086E4: 0B535316
	v_mul_f32_e32 v170, v22, v170                              // 0000000086E8: 0B555516
	v_mul_f32_e32 v171, v22, v171                              // 0000000086EC: 0B575716
	v_cvt_i32_f32_e32 v168, v168                               // 0000000086F0: 7F5011A8
	v_cvt_i32_f32_e32 v169, v169                               // 0000000086F4: 7F5211A9
	v_cvt_i32_f32_e32 v170, v170                               // 0000000086F8: 7F5411AA
	v_cvt_i32_f32_e32 v171, v171                               // 0000000086FC: 7F5611AB
	v_perm_b32 v138, v169, v168, s53                           // 000000008700: D1ED008A 00D751A9
	v_perm_b32 v138, v170, v138, s54                           // 000000008708: D1ED008A 00DB15AA
	v_perm_b32 v138, v171, v138, s55                           // 000000008710: D1ED008A 00DF15AB
	v_mul_f32_e32 v172, v23, v172                              // 000000008718: 0B595917
	v_mul_f32_e32 v173, v23, v173                              // 00000000871C: 0B5B5B17
	v_mul_f32_e32 v174, v23, v174                              // 000000008720: 0B5D5D17
	v_mul_f32_e32 v175, v23, v175                              // 000000008724: 0B5F5F17
	v_cvt_i32_f32_e32 v172, v172                               // 000000008728: 7F5811AC
	v_cvt_i32_f32_e32 v173, v173                               // 00000000872C: 7F5A11AD
	v_cvt_i32_f32_e32 v174, v174                               // 000000008730: 7F5C11AE
	v_cvt_i32_f32_e32 v175, v175                               // 000000008734: 7F5E11AF
	v_perm_b32 v139, v173, v172, s53                           // 000000008738: D1ED008B 00D759AD
	v_perm_b32 v139, v174, v139, s54                           // 000000008740: D1ED008B 00DB17AE
	v_perm_b32 v139, v175, v139, s55                           // 000000008748: D1ED008B 00DF17AF
	v_mul_f32_e32 v176, v22, v176                              // 000000008750: 0B616116
	v_mul_f32_e32 v177, v22, v177                              // 000000008754: 0B636316
	v_mul_f32_e32 v178, v22, v178                              // 000000008758: 0B656516
	v_mul_f32_e32 v179, v22, v179                              // 00000000875C: 0B676716
	v_cvt_i32_f32_e32 v176, v176                               // 000000008760: 7F6011B0
	v_cvt_i32_f32_e32 v177, v177                               // 000000008764: 7F6211B1
	v_cvt_i32_f32_e32 v178, v178                               // 000000008768: 7F6411B2
	v_cvt_i32_f32_e32 v179, v179                               // 00000000876C: 7F6611B3
	v_perm_b32 v140, v177, v176, s53                           // 000000008770: D1ED008C 00D761B1
	v_perm_b32 v140, v178, v140, s54                           // 000000008778: D1ED008C 00DB19B2
	v_perm_b32 v140, v179, v140, s55                           // 000000008780: D1ED008C 00DF19B3
	v_mul_f32_e32 v180, v23, v180                              // 000000008788: 0B696917
	v_mul_f32_e32 v181, v23, v181                              // 00000000878C: 0B6B6B17
	v_mul_f32_e32 v182, v23, v182                              // 000000008790: 0B6D6D17
	v_mul_f32_e32 v183, v23, v183                              // 000000008794: 0B6F6F17
	v_cvt_i32_f32_e32 v180, v180                               // 000000008798: 7F6811B4
	v_cvt_i32_f32_e32 v181, v181                               // 00000000879C: 7F6A11B5
	v_cvt_i32_f32_e32 v182, v182                               // 0000000087A0: 7F6C11B6
	v_cvt_i32_f32_e32 v183, v183                               // 0000000087A4: 7F6E11B7
	v_perm_b32 v141, v181, v180, s53                           // 0000000087A8: D1ED008D 00D769B5
	v_perm_b32 v141, v182, v141, s54                           // 0000000087B0: D1ED008D 00DB1BB6
	v_perm_b32 v141, v183, v141, s55                           // 0000000087B8: D1ED008D 00DF1BB7
	v_rcp_f32_e32 v24, v22                                     // 0000000087C0: 7E304516
	v_rcp_f32_e32 v25, v23                                     // 0000000087C4: 7E324517
	v_lshrrev_b32_e32 v50, 5, v0                               // 0000000087C8: 20640085
	v_lshlrev_b32_e32 v51, 5, v50                              // 0000000087CC: 24666485
	v_and_b32_e32 v50, 31, v0                                  // 0000000087D0: 2664009F
	v_lshrrev_b32_e32 v52, 4, v50                              // 0000000087D4: 20686484
	v_add_u32_e32 v51, v52, v51                                // 0000000087D8: 68666734
	v_and_b32_e32 v50, 15, v0                                  // 0000000087DC: 2664008F
	v_lshlrev_b32_e32 v50, 1, v50                              // 0000000087E0: 24646481
	v_add_u32_e32 v51, v50, v51                                // 0000000087E4: 68666732
	v_lshlrev_b32_e32 v50, 2, v51                              // 0000000087E8: 24646682
	s_mul_i32 s60, 0x100, s7                                   // 0000000087EC: 923C07FF 00000100
	v_add_u32_e64 v50, v50, s60                                // 0000000087F4: D1340032 00007932
	ds_write_b32 v50, v128 offset:18688                        // 0000000087FC: D81A4900 00008032
	ds_write_b32 v50, v129 offset:25856                        // 000000008804: D81A6500 00008132
	ds_write_b32 v50, v130 offset:19712                        // 00000000880C: D81A4D00 00008232
	ds_write_b32 v50, v131 offset:26880                        // 000000008814: D81A6900 00008332
	ds_write_b32 v50, v132 offset:20736                        // 00000000881C: D81A5100 00008432
	ds_write_b32 v50, v133 offset:27904                        // 000000008824: D81A6D00 00008532
	ds_write_b32 v50, v134 offset:21760                        // 00000000882C: D81A5500 00008632
	ds_write_b32 v50, v135 offset:28928                        // 000000008834: D81A7100 00008732
	ds_write_b32 v50, v136 offset:22784                        // 00000000883C: D81A5900 00008832
	ds_write_b32 v50, v137 offset:29952                        // 000000008844: D81A7500 00008932
	ds_write_b32 v50, v138 offset:23808                        // 00000000884C: D81A5D00 00008A32
	ds_write_b32 v50, v139 offset:30976                        // 000000008854: D81A7900 00008B32
	ds_write_b32 v50, v140 offset:24832                        // 00000000885C: D81A6100 00008C32
	ds_write_b32 v50, v141 offset:32000                        // 000000008864: D81A7D00 00008D32
	s_waitcnt lgkmcnt(0)                                       // 00000000886C: BF8CC07F
	s_barrier                                                  // 000000008870: BF8A0000
	v_lshrrev_b32_e32 v50, 4, v0                               // 000000008874: 20640084
	v_lshlrev_b32_e32 v51, 6, v50                              // 000000008878: 24666486
	v_and_b32_e32 v50, 15, v0                                  // 00000000887C: 2664008F
	v_lshlrev_b32_e32 v50, 1, v50                              // 000000008880: 24646481
	v_add_u32_e32 v51, v50, v51                                // 000000008884: 68666732
	v_lshlrev_b32_e32 v50, 2, v51                              // 000000008888: 24646682
	ds_read_b64 v[128:129], v50 offset:18688                   // 00000000888C: D8EC4900 80000032
	ds_read_b64 v[130:131], v50 offset:18816                   // 000000008894: D8EC4980 82000032
	ds_read_b64 v[132:133], v50 offset:19712                   // 00000000889C: D8EC4D00 84000032
	ds_read_b64 v[134:135], v50 offset:19840                   // 0000000088A4: D8EC4D80 86000032
	ds_read_b64 v[136:137], v50 offset:20736                   // 0000000088AC: D8EC5100 88000032
	ds_read_b64 v[138:139], v50 offset:20864                   // 0000000088B4: D8EC5180 8A000032
	ds_read_b64 v[140:141], v50 offset:21760                   // 0000000088BC: D8EC5500 8C000032
	ds_read_b64 v[142:143], v50 offset:21888                   // 0000000088C4: D8EC5580 8E000032
	ds_read_b64 v[144:145], v50 offset:22784                   // 0000000088CC: D8EC5900 90000032
	ds_read_b64 v[146:147], v50 offset:22912                   // 0000000088D4: D8EC5980 92000032
	ds_read_b64 v[148:149], v50 offset:23808                   // 0000000088DC: D8EC5D00 94000032
	ds_read_b64 v[150:151], v50 offset:23936                   // 0000000088E4: D8EC5D80 96000032
	ds_read_b64 v[152:153], v50 offset:24832                   // 0000000088EC: D8EC6100 98000032
	ds_read_b64 v[154:155], v50 offset:24960                   // 0000000088F4: D8EC6180 9A000032
	ds_read_b64 v[156:157], v50 offset:25856                   // 0000000088FC: D8EC6500 9C000032
	ds_read_b64 v[158:159], v50 offset:25984                   // 000000008904: D8EC6580 9E000032
	ds_read_b64 v[160:161], v50 offset:26880                   // 00000000890C: D8EC6900 A0000032
	ds_read_b64 v[162:163], v50 offset:27008                   // 000000008914: D8EC6980 A2000032
	ds_read_b64 v[164:165], v50 offset:27904                   // 00000000891C: D8EC6D00 A4000032
	ds_read_b64 v[166:167], v50 offset:28032                   // 000000008924: D8EC6D80 A6000032
	ds_read_b64 v[168:169], v50 offset:28928                   // 00000000892C: D8EC7100 A8000032
	ds_read_b64 v[170:171], v50 offset:29056                   // 000000008934: D8EC7180 AA000032
	ds_read_b64 v[172:173], v50 offset:29952                   // 00000000893C: D8EC7500 AC000032
	ds_read_b64 v[174:175], v50 offset:30080                   // 000000008944: D8EC7580 AE000032
	ds_read_b64 v[176:177], v50 offset:30976                   // 00000000894C: D8EC7900 B0000032
	ds_read_b64 v[178:179], v50 offset:31104                   // 000000008954: D8EC7980 B2000032
	ds_read_b64 v[180:181], v50 offset:32000                   // 00000000895C: D8EC7D00 B4000032
	ds_read_b64 v[182:183], v50 offset:32128                   // 000000008964: D8EC7D80 B6000032
	s_add_u32 s12, s56, s12                                    // 00000000896C: 800C0C38
	s_addc_u32 s13, 0, s13                                     // 000000008970: 820D0D80
	s_add_u32 s16, s79, s16                                    // 000000008974: 8010104F
	s_addc_u32 s17, 0, s17                                     // 000000008978: 82111180
	s_mov_b32 s80, 0                                           // 00000000897C: BED00080
	s_waitcnt vmcnt(0) expcnt(0) lgkmcnt(0)                    // 000000008980: BF8C0000

0000000000008984 <label_16E1>:
	s_waitcnt vmcnt(41)                                        // 000000008984: BF8C8F79
	s_barrier                                                  // 000000008988: BF8A0000
	v_mfma_i32_16x16x32_i8 v[184:187], a[0:1], v[128:129], 0   // 00000000898C: D3D700B8 0A030100
	buffer_load_dwordx4 a[112:115], v41, s[12:15], 0 offen     // 000000008994: E05C1000 80837029
	v_mfma_i32_16x16x32_i8 v[184:187], a[2:3], v[130:131], v[184:187]// 00000000899C: D3D700B8 0EE30502
	v_mfma_i32_16x16x32_i8 v[188:191], a[0:1], v[156:157], 0   // 0000000089A4: D3D700BC 0A033900
	v_mfma_i32_16x16x32_i8 v[188:191], a[2:3], v[158:159], v[188:191]// 0000000089AC: D3D700BC 0EF33D02
	v_mfma_i32_16x16x32_i8 v[192:195], a[4:5], v[128:129], 0   // 0000000089B4: D3D700C0 0A030104
	buffer_load_dwordx4 a[116:119], v42, s[12:15], 0 offen     // 0000000089BC: E05C1000 8083742A
	v_mfma_i32_16x16x32_i8 v[192:195], a[6:7], v[130:131], v[192:195]// 0000000089C4: D3D700C0 0F030506
	v_mfma_i32_16x16x32_i8 v[196:199], a[4:5], v[156:157], 0   // 0000000089CC: D3D700C4 0A033904
	v_mfma_i32_16x16x32_i8 v[196:199], a[6:7], v[158:159], v[196:199]// 0000000089D4: D3D700C4 0F133D06
	v_mfma_i32_16x16x32_i8 v[200:203], a[8:9], v[128:129], 0   // 0000000089DC: D3D700C8 0A030108
	buffer_load_dwordx4 a[120:123], v43, s[12:15], 0 offen     // 0000000089E4: E05C1000 8083782B
	v_mfma_i32_16x16x32_i8 v[200:203], a[10:11], v[130:131], v[200:203]// 0000000089EC: D3D700C8 0F23050A
	v_mfma_i32_16x16x32_i8 v[204:207], a[8:9], v[156:157], 0   // 0000000089F4: D3D700CC 0A033908
	v_mfma_i32_16x16x32_i8 v[204:207], a[10:11], v[158:159], v[204:207]// 0000000089FC: D3D700CC 0F333D0A
	v_mfma_i32_16x16x32_i8 v[208:211], a[12:13], v[128:129], 0 // 000000008A04: D3D700D0 0A03010C
	buffer_load_dwordx4 a[124:127], v44, s[12:15], 0 offen     // 000000008A0C: E05C1000 80837C2C
	s_add_u32 s12, s78, s12                                    // 000000008A14: 800C0C4E
	s_addc_u32 s13, 0, s13                                     // 000000008A18: 820D0D80
	v_mfma_i32_16x16x32_i8 v[208:211], a[14:15], v[130:131], v[208:211]// 000000008A1C: D3D700D0 0F43050E
	v_mfma_i32_16x16x32_i8 v[212:215], a[12:13], v[156:157], 0 // 000000008A24: D3D700D4 0A03390C
	v_mfma_i32_16x16x32_i8 v[212:215], a[14:15], v[158:159], v[212:215]// 000000008A2C: D3D700D4 0F533D0E
	s_waitcnt vmcnt(41)                                        // 000000008A34: BF8C8F79
	v_mfma_i32_16x16x32_i8 v[184:187], a[16:17], v[132:133], v[184:187]// 000000008A38: D3D700B8 0EE30910
	buffer_load_dwordx4 a[128:131], v41, s[12:15], 0 offen     // 000000008A40: E05C1000 80838029
	v_mfma_i32_16x16x32_i8 v[184:187], a[18:19], v[134:135], v[184:187]// 000000008A48: D3D700B8 0EE30D12
	v_mfma_i32_16x16x32_i8 v[188:191], a[16:17], v[160:161], v[188:191]// 000000008A50: D3D700BC 0EF34110
	v_mfma_i32_16x16x32_i8 v[188:191], a[18:19], v[162:163], v[188:191]// 000000008A58: D3D700BC 0EF34512
	v_mfma_i32_16x16x32_i8 v[192:195], a[20:21], v[132:133], v[192:195]// 000000008A60: D3D700C0 0F030914
	buffer_load_dwordx4 a[132:135], v42, s[12:15], 0 offen     // 000000008A68: E05C1000 8083842A
	v_mfma_i32_16x16x32_i8 v[192:195], a[22:23], v[134:135], v[192:195]// 000000008A70: D3D700C0 0F030D16
	v_mfma_i32_16x16x32_i8 v[196:199], a[20:21], v[160:161], v[196:199]// 000000008A78: D3D700C4 0F134114
	v_mfma_i32_16x16x32_i8 v[196:199], a[22:23], v[162:163], v[196:199]// 000000008A80: D3D700C4 0F134516
	v_mfma_i32_16x16x32_i8 v[200:203], a[24:25], v[132:133], v[200:203]// 000000008A88: D3D700C8 0F230918
	buffer_load_dwordx4 a[136:139], v43, s[12:15], 0 offen     // 000000008A90: E05C1000 8083882B
	v_mfma_i32_16x16x32_i8 v[200:203], a[26:27], v[134:135], v[200:203]// 000000008A98: D3D700C8 0F230D1A
	v_mfma_i32_16x16x32_i8 v[204:207], a[24:25], v[160:161], v[204:207]// 000000008AA0: D3D700CC 0F334118
	v_mfma_i32_16x16x32_i8 v[204:207], a[26:27], v[162:163], v[204:207]// 000000008AA8: D3D700CC 0F33451A
	v_mfma_i32_16x16x32_i8 v[208:211], a[28:29], v[132:133], v[208:211]// 000000008AB0: D3D700D0 0F43091C
	buffer_load_dwordx4 a[140:143], v44, s[12:15], 0 offen     // 000000008AB8: E05C1000 80838C2C
	s_add_u32 s12, s78, s12                                    // 000000008AC0: 800C0C4E
	s_addc_u32 s13, 0, s13                                     // 000000008AC4: 820D0D80
	v_mfma_i32_16x16x32_i8 v[208:211], a[30:31], v[134:135], v[208:211]// 000000008AC8: D3D700D0 0F430D1E
	v_mfma_i32_16x16x32_i8 v[212:215], a[28:29], v[160:161], v[212:215]// 000000008AD0: D3D700D4 0F53411C
	v_mfma_i32_16x16x32_i8 v[212:215], a[30:31], v[162:163], v[212:215]// 000000008AD8: D3D700D4 0F53451E
	s_waitcnt vmcnt(41)                                        // 000000008AE0: BF8C8F79
	v_mfma_i32_16x16x32_i8 v[184:187], a[32:33], v[136:137], v[184:187]// 000000008AE4: D3D700B8 0EE31120
	buffer_load_dwordx4 a[144:147], v41, s[12:15], 0 offen     // 000000008AEC: E05C1000 80839029
	v_mfma_i32_16x16x32_i8 v[184:187], a[34:35], v[138:139], v[184:187]// 000000008AF4: D3D700B8 0EE31522
	v_mfma_i32_16x16x32_i8 v[188:191], a[32:33], v[164:165], v[188:191]// 000000008AFC: D3D700BC 0EF34920
	v_mfma_i32_16x16x32_i8 v[188:191], a[34:35], v[166:167], v[188:191]// 000000008B04: D3D700BC 0EF34D22
	v_mfma_i32_16x16x32_i8 v[192:195], a[36:37], v[136:137], v[192:195]// 000000008B0C: D3D700C0 0F031124
	buffer_load_dwordx4 a[148:151], v42, s[12:15], 0 offen     // 000000008B14: E05C1000 8083942A
	v_mfma_i32_16x16x32_i8 v[192:195], a[38:39], v[138:139], v[192:195]// 000000008B1C: D3D700C0 0F031526
	v_mfma_i32_16x16x32_i8 v[196:199], a[36:37], v[164:165], v[196:199]// 000000008B24: D3D700C4 0F134924
	v_mfma_i32_16x16x32_i8 v[196:199], a[38:39], v[166:167], v[196:199]// 000000008B2C: D3D700C4 0F134D26
	v_mfma_i32_16x16x32_i8 v[200:203], a[40:41], v[136:137], v[200:203]// 000000008B34: D3D700C8 0F231128
	buffer_load_dwordx4 a[152:155], v43, s[12:15], 0 offen     // 000000008B3C: E05C1000 8083982B
	v_mfma_i32_16x16x32_i8 v[200:203], a[42:43], v[138:139], v[200:203]// 000000008B44: D3D700C8 0F23152A
	v_mfma_i32_16x16x32_i8 v[204:207], a[40:41], v[164:165], v[204:207]// 000000008B4C: D3D700CC 0F334928
	v_mfma_i32_16x16x32_i8 v[204:207], a[42:43], v[166:167], v[204:207]// 000000008B54: D3D700CC 0F334D2A
	v_mfma_i32_16x16x32_i8 v[208:211], a[44:45], v[136:137], v[208:211]// 000000008B5C: D3D700D0 0F43112C
	buffer_load_dwordx4 a[156:159], v44, s[12:15], 0 offen     // 000000008B64: E05C1000 80839C2C
	s_add_u32 s12, s78, s12                                    // 000000008B6C: 800C0C4E
	s_addc_u32 s13, 0, s13                                     // 000000008B70: 820D0D80
	v_mfma_i32_16x16x32_i8 v[208:211], a[46:47], v[138:139], v[208:211]// 000000008B74: D3D700D0 0F43152E
	v_mfma_i32_16x16x32_i8 v[212:215], a[44:45], v[164:165], v[212:215]// 000000008B7C: D3D700D4 0F53492C
	v_mfma_i32_16x16x32_i8 v[212:215], a[46:47], v[166:167], v[212:215]// 000000008B84: D3D700D4 0F534D2E
	s_waitcnt vmcnt(41)                                        // 000000008B8C: BF8C8F79
	v_mfma_i32_16x16x32_i8 v[184:187], a[48:49], v[140:141], v[184:187]// 000000008B90: D3D700B8 0EE31930
	buffer_load_dwordx4 a[160:163], v41, s[12:15], 0 offen     // 000000008B98: E05C1000 8083A029
	v_mfma_i32_16x16x32_i8 v[184:187], a[50:51], v[142:143], v[184:187]// 000000008BA0: D3D700B8 0EE31D32
	v_mfma_i32_16x16x32_i8 v[188:191], a[48:49], v[168:169], v[188:191]// 000000008BA8: D3D700BC 0EF35130
	v_mfma_i32_16x16x32_i8 v[188:191], a[50:51], v[170:171], v[188:191]// 000000008BB0: D3D700BC 0EF35532
	v_mfma_i32_16x16x32_i8 v[192:195], a[52:53], v[140:141], v[192:195]// 000000008BB8: D3D700C0 0F031934
	buffer_load_dwordx4 a[164:167], v42, s[12:15], 0 offen     // 000000008BC0: E05C1000 8083A42A
	v_mfma_i32_16x16x32_i8 v[192:195], a[54:55], v[142:143], v[192:195]// 000000008BC8: D3D700C0 0F031D36
	v_mfma_i32_16x16x32_i8 v[196:199], a[52:53], v[168:169], v[196:199]// 000000008BD0: D3D700C4 0F135134
	v_mfma_i32_16x16x32_i8 v[196:199], a[54:55], v[170:171], v[196:199]// 000000008BD8: D3D700C4 0F135536
	v_mfma_i32_16x16x32_i8 v[200:203], a[56:57], v[140:141], v[200:203]// 000000008BE0: D3D700C8 0F231938
	buffer_load_dwordx4 a[168:171], v43, s[12:15], 0 offen     // 000000008BE8: E05C1000 8083A82B
	v_mfma_i32_16x16x32_i8 v[200:203], a[58:59], v[142:143], v[200:203]// 000000008BF0: D3D700C8 0F231D3A
	v_mfma_i32_16x16x32_i8 v[204:207], a[56:57], v[168:169], v[204:207]// 000000008BF8: D3D700CC 0F335138
	v_mfma_i32_16x16x32_i8 v[204:207], a[58:59], v[170:171], v[204:207]// 000000008C00: D3D700CC 0F33553A
	v_mfma_i32_16x16x32_i8 v[208:211], a[60:61], v[140:141], v[208:211]// 000000008C08: D3D700D0 0F43193C
	buffer_load_dwordx4 a[172:175], v44, s[12:15], 0 offen     // 000000008C10: E05C1000 8083AC2C
	s_add_u32 s12, s78, s12                                    // 000000008C18: 800C0C4E
	s_addc_u32 s13, 0, s13                                     // 000000008C1C: 820D0D80
	v_mfma_i32_16x16x32_i8 v[208:211], a[62:63], v[142:143], v[208:211]// 000000008C20: D3D700D0 0F431D3E
	v_mfma_i32_16x16x32_i8 v[212:215], a[60:61], v[168:169], v[212:215]// 000000008C28: D3D700D4 0F53513C
	v_mfma_i32_16x16x32_i8 v[212:215], a[62:63], v[170:171], v[212:215]// 000000008C30: D3D700D4 0F53553E
	s_waitcnt vmcnt(41)                                        // 000000008C38: BF8C8F79
	v_mfma_i32_16x16x32_i8 v[184:187], a[64:65], v[144:145], v[184:187]// 000000008C3C: D3D700B8 0EE32140
	buffer_load_dwordx4 a[176:179], v41, s[12:15], 0 offen     // 000000008C44: E05C1000 8083B029
	v_mfma_i32_16x16x32_i8 v[184:187], a[66:67], v[146:147], v[184:187]// 000000008C4C: D3D700B8 0EE32542
	v_mfma_i32_16x16x32_i8 v[188:191], a[64:65], v[172:173], v[188:191]// 000000008C54: D3D700BC 0EF35940
	v_mfma_i32_16x16x32_i8 v[188:191], a[66:67], v[174:175], v[188:191]// 000000008C5C: D3D700BC 0EF35D42
	v_mfma_i32_16x16x32_i8 v[192:195], a[68:69], v[144:145], v[192:195]// 000000008C64: D3D700C0 0F032144
	buffer_load_dwordx4 a[180:183], v42, s[12:15], 0 offen     // 000000008C6C: E05C1000 8083B42A
	v_mfma_i32_16x16x32_i8 v[192:195], a[70:71], v[146:147], v[192:195]// 000000008C74: D3D700C0 0F032546
	v_mfma_i32_16x16x32_i8 v[196:199], a[68:69], v[172:173], v[196:199]// 000000008C7C: D3D700C4 0F135944
	v_mfma_i32_16x16x32_i8 v[196:199], a[70:71], v[174:175], v[196:199]// 000000008C84: D3D700C4 0F135D46
	v_mfma_i32_16x16x32_i8 v[200:203], a[72:73], v[144:145], v[200:203]// 000000008C8C: D3D700C8 0F232148
	buffer_load_dwordx4 a[184:187], v43, s[12:15], 0 offen     // 000000008C94: E05C1000 8083B82B
	v_mfma_i32_16x16x32_i8 v[200:203], a[74:75], v[146:147], v[200:203]// 000000008C9C: D3D700C8 0F23254A
	v_mfma_i32_16x16x32_i8 v[204:207], a[72:73], v[172:173], v[204:207]// 000000008CA4: D3D700CC 0F335948
	v_mfma_i32_16x16x32_i8 v[204:207], a[74:75], v[174:175], v[204:207]// 000000008CAC: D3D700CC 0F335D4A
	v_mfma_i32_16x16x32_i8 v[208:211], a[76:77], v[144:145], v[208:211]// 000000008CB4: D3D700D0 0F43214C
	buffer_load_dwordx4 a[188:191], v44, s[12:15], 0 offen     // 000000008CBC: E05C1000 8083BC2C
	s_add_u32 s12, s78, s12                                    // 000000008CC4: 800C0C4E
	s_addc_u32 s13, 0, s13                                     // 000000008CC8: 820D0D80
	v_mfma_i32_16x16x32_i8 v[208:211], a[78:79], v[146:147], v[208:211]// 000000008CCC: D3D700D0 0F43254E
	v_mfma_i32_16x16x32_i8 v[212:215], a[76:77], v[172:173], v[212:215]// 000000008CD4: D3D700D4 0F53594C
	v_mfma_i32_16x16x32_i8 v[212:215], a[78:79], v[174:175], v[212:215]// 000000008CDC: D3D700D4 0F535D4E
	s_waitcnt vmcnt(41)                                        // 000000008CE4: BF8C8F79
	v_mfma_i32_16x16x32_i8 v[184:187], a[80:81], v[148:149], v[184:187]// 000000008CE8: D3D700B8 0EE32950
	buffer_load_dwordx4 a[192:195], v41, s[12:15], 0 offen     // 000000008CF0: E05C1000 8083C029
	v_mfma_i32_16x16x32_i8 v[184:187], a[82:83], v[150:151], v[184:187]// 000000008CF8: D3D700B8 0EE32D52
	v_mfma_i32_16x16x32_i8 v[188:191], a[80:81], v[176:177], v[188:191]// 000000008D00: D3D700BC 0EF36150
	v_mfma_i32_16x16x32_i8 v[188:191], a[82:83], v[178:179], v[188:191]// 000000008D08: D3D700BC 0EF36552
	v_mfma_i32_16x16x32_i8 v[192:195], a[84:85], v[148:149], v[192:195]// 000000008D10: D3D700C0 0F032954
	buffer_load_dwordx4 a[196:199], v42, s[12:15], 0 offen     // 000000008D18: E05C1000 8083C42A
	v_mfma_i32_16x16x32_i8 v[192:195], a[86:87], v[150:151], v[192:195]// 000000008D20: D3D700C0 0F032D56
	v_mfma_i32_16x16x32_i8 v[196:199], a[84:85], v[176:177], v[196:199]// 000000008D28: D3D700C4 0F136154
	v_mfma_i32_16x16x32_i8 v[196:199], a[86:87], v[178:179], v[196:199]// 000000008D30: D3D700C4 0F136556
	v_mfma_i32_16x16x32_i8 v[200:203], a[88:89], v[148:149], v[200:203]// 000000008D38: D3D700C8 0F232958
	buffer_load_dwordx4 a[200:203], v43, s[12:15], 0 offen     // 000000008D40: E05C1000 8083C82B
	v_mfma_i32_16x16x32_i8 v[200:203], a[90:91], v[150:151], v[200:203]// 000000008D48: D3D700C8 0F232D5A
	v_mfma_i32_16x16x32_i8 v[204:207], a[88:89], v[176:177], v[204:207]// 000000008D50: D3D700CC 0F336158
	v_mfma_i32_16x16x32_i8 v[204:207], a[90:91], v[178:179], v[204:207]// 000000008D58: D3D700CC 0F33655A
	v_mfma_i32_16x16x32_i8 v[208:211], a[92:93], v[148:149], v[208:211]// 000000008D60: D3D700D0 0F43295C
	buffer_load_dwordx4 a[204:207], v44, s[12:15], 0 offen     // 000000008D68: E05C1000 8083CC2C
	s_add_u32 s12, s78, s12                                    // 000000008D70: 800C0C4E
	s_addc_u32 s13, 0, s13                                     // 000000008D74: 820D0D80
	v_mfma_i32_16x16x32_i8 v[208:211], a[94:95], v[150:151], v[208:211]// 000000008D78: D3D700D0 0F432D5E
	v_mfma_i32_16x16x32_i8 v[212:215], a[92:93], v[176:177], v[212:215]// 000000008D80: D3D700D4 0F53615C
	v_mfma_i32_16x16x32_i8 v[212:215], a[94:95], v[178:179], v[212:215]// 000000008D88: D3D700D4 0F53655E
	s_waitcnt vmcnt(40)                                        // 000000008D90: BF8C8F78
	v_mfma_i32_16x16x32_i8 v[184:187], a[96:97], v[152:153], v[184:187]// 000000008D94: D3D700B8 0EE33160
	buffer_load_dwordx4 a[208:211], v41, s[12:15], 0 offen     // 000000008D9C: E05C1000 8083D029
	v_mfma_i32_16x16x32_i8 v[184:187], a[98:99], v[154:155], v[184:187]// 000000008DA4: D3D700B8 0EE33562
	v_mfma_i32_16x16x32_i8 v[188:191], a[96:97], v[180:181], v[188:191]// 000000008DAC: D3D700BC 0EF36960
	buffer_load_dword v13, v5, s[16:19], 0 offen               // 000000008DB4: E0501000 80040D05
	v_mfma_i32_16x16x32_i8 v[188:191], a[98:99], v[182:183], v[188:191]// 000000008DBC: D3D700BC 0EF36D62
	v_mfma_i32_16x16x32_i8 v[192:195], a[100:101], v[152:153], v[192:195]// 000000008DC4: D3D700C0 0F033164
	buffer_load_dwordx4 a[212:215], v42, s[12:15], 0 offen     // 000000008DCC: E05C1000 8083D42A
	v_mfma_i32_16x16x32_i8 v[192:195], a[102:103], v[154:155], v[192:195]// 000000008DD4: D3D700C0 0F033566
	v_mfma_i32_16x16x32_i8 v[196:199], a[100:101], v[180:181], v[196:199]// 000000008DDC: D3D700C4 0F136964
	v_mfma_i32_16x16x32_i8 v[196:199], a[102:103], v[182:183], v[196:199]// 000000008DE4: D3D700C4 0F136D66
	v_mfma_i32_16x16x32_i8 v[200:203], a[104:105], v[152:153], v[200:203]// 000000008DEC: D3D700C8 0F233168
	buffer_load_dwordx4 a[216:219], v43, s[12:15], 0 offen     // 000000008DF4: E05C1000 8083D82B
	v_mfma_i32_16x16x32_i8 v[200:203], a[106:107], v[154:155], v[200:203]// 000000008DFC: D3D700C8 0F23356A
	v_mfma_i32_16x16x32_i8 v[204:207], a[104:105], v[180:181], v[204:207]// 000000008E04: D3D700CC 0F336968
	v_mfma_i32_16x16x32_i8 v[204:207], a[106:107], v[182:183], v[204:207]// 000000008E0C: D3D700CC 0F336D6A
	v_mfma_i32_16x16x32_i8 v[208:211], a[108:109], v[152:153], v[208:211]// 000000008E14: D3D700D0 0F43316C
	buffer_load_dwordx4 a[220:223], v44, s[12:15], 0 offen     // 000000008E1C: E05C1000 8083DC2C
	v_mfma_i32_16x16x32_i8 v[208:211], a[110:111], v[154:155], v[208:211]// 000000008E24: D3D700D0 0F43356E
	v_mfma_i32_16x16x32_i8 v[212:215], a[108:109], v[180:181], v[212:215]// 000000008E2C: D3D700D4 0F53696C
	v_mfma_i32_16x16x32_i8 v[212:215], a[110:111], v[182:183], v[212:215]// 000000008E34: D3D700D4 0F536D6E
	s_add_u32 s60, 0x200, s80                                  // 000000008E3C: 803C50FF 00000200
	s_cmp_lt_u32 s60, s81                                      // 000000008E44: BF0A513C
	s_cselect_b32 s56, s56, 0                                  // 000000008E48: 85388038
	s_cselect_b32 s78, s78, 0                                  // 000000008E4C: 854E804E
	s_cselect_b32 s79, s79, 0                                  // 000000008E50: 854F804F
	s_add_u32 s12, s56, s12                                    // 000000008E54: 800C0C38
	s_addc_u32 s13, 0, s13                                     // 000000008E58: 820D0D80
	s_add_u32 s16, s79, s16                                    // 000000008E5C: 8010104F
	s_addc_u32 s17, 0, s17                                     // 000000008E60: 82111180
	v_cvt_f32_i32_e32 v184, v184                               // 000000008E64: 7F700BB8
	v_cvt_f32_i32_e32 v185, v185                               // 000000008E68: 7F720BB9
	v_cvt_f32_i32_e32 v186, v186                               // 000000008E6C: 7F740BBA
	v_cvt_f32_i32_e32 v187, v187                               // 000000008E70: 7F760BBB
	v_mul_f32_e32 v184, v24, v184                              // 000000008E74: 0B717118
	v_mul_f32_e32 v185, v24, v185                              // 000000008E78: 0B737318
	v_mul_f32_e32 v186, v24, v186                              // 000000008E7C: 0B757518
	v_mul_f32_e32 v187, v24, v187                              // 000000008E80: 0B777718
	v_mul_f32_dpp v184, v12, v184 row_newbcast:0 row_mask:0xf bank_mask:0xf// 000000008E84: 0B7170FA FF01500C
	v_mul_f32_dpp v185, v12, v185 row_newbcast:1 row_mask:0xf bank_mask:0xf// 000000008E8C: 0B7372FA FF01510C
	v_mul_f32_dpp v186, v12, v186 row_newbcast:2 row_mask:0xf bank_mask:0xf// 000000008E94: 0B7574FA FF01520C
	v_mul_f32_dpp v187, v12, v187 row_newbcast:3 row_mask:0xf bank_mask:0xf// 000000008E9C: 0B7776FA FF01530C
	v_mul_f32_e32 v184, v20, v184                              // 000000008EA4: 0B717114
	v_mul_f32_e32 v185, v20, v185                              // 000000008EA8: 0B737314
	v_mul_f32_e32 v186, v20, v186                              // 000000008EAC: 0B757514
	v_mul_f32_e32 v187, v20, v187                              // 000000008EB0: 0B777714
	v_cvt_f32_i32_e32 v188, v188                               // 000000008EB4: 7F780BBC
	v_cvt_f32_i32_e32 v189, v189                               // 000000008EB8: 7F7A0BBD
	v_cvt_f32_i32_e32 v190, v190                               // 000000008EBC: 7F7C0BBE
	v_cvt_f32_i32_e32 v191, v191                               // 000000008EC0: 7F7E0BBF
	v_mul_f32_e32 v188, v25, v188                              // 000000008EC4: 0B797919
	v_mul_f32_e32 v189, v25, v189                              // 000000008EC8: 0B7B7B19
	v_mul_f32_e32 v190, v25, v190                              // 000000008ECC: 0B7D7D19
	v_mul_f32_e32 v191, v25, v191                              // 000000008ED0: 0B7F7F19
	v_mul_f32_dpp v188, v12, v188 row_newbcast:0 row_mask:0xf bank_mask:0xf// 000000008ED4: 0B7978FA FF01500C
	v_mul_f32_dpp v189, v12, v189 row_newbcast:1 row_mask:0xf bank_mask:0xf// 000000008EDC: 0B7B7AFA FF01510C
	v_mul_f32_dpp v190, v12, v190 row_newbcast:2 row_mask:0xf bank_mask:0xf// 000000008EE4: 0B7D7CFA FF01520C
	v_mul_f32_dpp v191, v12, v191 row_newbcast:3 row_mask:0xf bank_mask:0xf// 000000008EEC: 0B7F7EFA FF01530C
	v_mul_f32_e32 v188, v21, v188                              // 000000008EF4: 0B797915
	v_mul_f32_e32 v189, v21, v189                              // 000000008EF8: 0B7B7B15
	v_mul_f32_e32 v190, v21, v190                              // 000000008EFC: 0B7D7D15
	v_mul_f32_e32 v191, v21, v191                              // 000000008F00: 0B7F7F15
	v_cvt_f32_i32_e32 v192, v192                               // 000000008F04: 7F800BC0
	v_cvt_f32_i32_e32 v193, v193                               // 000000008F08: 7F820BC1
	v_cvt_f32_i32_e32 v194, v194                               // 000000008F0C: 7F840BC2
	v_cvt_f32_i32_e32 v195, v195                               // 000000008F10: 7F860BC3
	v_mul_f32_e32 v192, v24, v192                              // 000000008F14: 0B818118
	v_mul_f32_e32 v193, v24, v193                              // 000000008F18: 0B838318
	v_mul_f32_e32 v194, v24, v194                              // 000000008F1C: 0B858518
	v_mul_f32_e32 v195, v24, v195                              // 000000008F20: 0B878718
	v_mul_f32_dpp v192, v12, v192 row_newbcast:4 row_mask:0xf bank_mask:0xf// 000000008F24: 0B8180FA FF01540C
	v_mul_f32_dpp v193, v12, v193 row_newbcast:5 row_mask:0xf bank_mask:0xf// 000000008F2C: 0B8382FA FF01550C
	v_mul_f32_dpp v194, v12, v194 row_newbcast:6 row_mask:0xf bank_mask:0xf// 000000008F34: 0B8584FA FF01560C
	v_mul_f32_dpp v195, v12, v195 row_newbcast:7 row_mask:0xf bank_mask:0xf// 000000008F3C: 0B8786FA FF01570C
	v_mul_f32_e32 v192, v20, v192                              // 000000008F44: 0B818114
	v_mul_f32_e32 v193, v20, v193                              // 000000008F48: 0B838314
	v_mul_f32_e32 v194, v20, v194                              // 000000008F4C: 0B858514
	v_mul_f32_e32 v195, v20, v195                              // 000000008F50: 0B878714
	v_cvt_f32_i32_e32 v196, v196                               // 000000008F54: 7F880BC4
	v_cvt_f32_i32_e32 v197, v197                               // 000000008F58: 7F8A0BC5
	v_cvt_f32_i32_e32 v198, v198                               // 000000008F5C: 7F8C0BC6
	v_cvt_f32_i32_e32 v199, v199                               // 000000008F60: 7F8E0BC7
	v_mul_f32_e32 v196, v25, v196                              // 000000008F64: 0B898919
	v_mul_f32_e32 v197, v25, v197                              // 000000008F68: 0B8B8B19
	v_mul_f32_e32 v198, v25, v198                              // 000000008F6C: 0B8D8D19
	v_mul_f32_e32 v199, v25, v199                              // 000000008F70: 0B8F8F19
	v_mul_f32_dpp v196, v12, v196 row_newbcast:4 row_mask:0xf bank_mask:0xf// 000000008F74: 0B8988FA FF01540C
	v_mul_f32_dpp v197, v12, v197 row_newbcast:5 row_mask:0xf bank_mask:0xf// 000000008F7C: 0B8B8AFA FF01550C
	v_mul_f32_dpp v198, v12, v198 row_newbcast:6 row_mask:0xf bank_mask:0xf// 000000008F84: 0B8D8CFA FF01560C
	v_mul_f32_dpp v199, v12, v199 row_newbcast:7 row_mask:0xf bank_mask:0xf// 000000008F8C: 0B8F8EFA FF01570C
	v_mul_f32_e32 v196, v21, v196                              // 000000008F94: 0B898915
	v_mul_f32_e32 v197, v21, v197                              // 000000008F98: 0B8B8B15
	v_mul_f32_e32 v198, v21, v198                              // 000000008F9C: 0B8D8D15
	v_mul_f32_e32 v199, v21, v199                              // 000000008FA0: 0B8F8F15
	v_cvt_f32_i32_e32 v200, v200                               // 000000008FA4: 7F900BC8
	v_cvt_f32_i32_e32 v201, v201                               // 000000008FA8: 7F920BC9
	v_cvt_f32_i32_e32 v202, v202                               // 000000008FAC: 7F940BCA
	v_cvt_f32_i32_e32 v203, v203                               // 000000008FB0: 7F960BCB
	v_mul_f32_e32 v200, v24, v200                              // 000000008FB4: 0B919118
	v_mul_f32_e32 v201, v24, v201                              // 000000008FB8: 0B939318
	v_mul_f32_e32 v202, v24, v202                              // 000000008FBC: 0B959518
	v_mul_f32_e32 v203, v24, v203                              // 000000008FC0: 0B979718
	v_mul_f32_dpp v200, v12, v200 row_newbcast:8 row_mask:0xf bank_mask:0xf// 000000008FC4: 0B9190FA FF01580C
	v_mul_f32_dpp v201, v12, v201 row_newbcast:9 row_mask:0xf bank_mask:0xf// 000000008FCC: 0B9392FA FF01590C
	v_mul_f32_dpp v202, v12, v202 row_newbcast:10 row_mask:0xf bank_mask:0xf// 000000008FD4: 0B9594FA FF015A0C
	v_mul_f32_dpp v203, v12, v203 row_newbcast:11 row_mask:0xf bank_mask:0xf// 000000008FDC: 0B9796FA FF015B0C
	v_mul_f32_e32 v200, v20, v200                              // 000000008FE4: 0B919114
	v_mul_f32_e32 v201, v20, v201                              // 000000008FE8: 0B939314
	v_mul_f32_e32 v202, v20, v202                              // 000000008FEC: 0B959514
	v_mul_f32_e32 v203, v20, v203                              // 000000008FF0: 0B979714
	v_cvt_f32_i32_e32 v204, v204                               // 000000008FF4: 7F980BCC
	v_cvt_f32_i32_e32 v205, v205                               // 000000008FF8: 7F9A0BCD
	v_cvt_f32_i32_e32 v206, v206                               // 000000008FFC: 7F9C0BCE
	v_cvt_f32_i32_e32 v207, v207                               // 000000009000: 7F9E0BCF
	v_mul_f32_e32 v204, v25, v204                              // 000000009004: 0B999919
	v_mul_f32_e32 v205, v25, v205                              // 000000009008: 0B9B9B19
	v_mul_f32_e32 v206, v25, v206                              // 00000000900C: 0B9D9D19
	v_mul_f32_e32 v207, v25, v207                              // 000000009010: 0B9F9F19
	v_mul_f32_dpp v204, v12, v204 row_newbcast:8 row_mask:0xf bank_mask:0xf// 000000009014: 0B9998FA FF01580C
	v_mul_f32_dpp v205, v12, v205 row_newbcast:9 row_mask:0xf bank_mask:0xf// 00000000901C: 0B9B9AFA FF01590C
	v_mul_f32_dpp v206, v12, v206 row_newbcast:10 row_mask:0xf bank_mask:0xf// 000000009024: 0B9D9CFA FF015A0C
	v_mul_f32_dpp v207, v12, v207 row_newbcast:11 row_mask:0xf bank_mask:0xf// 00000000902C: 0B9F9EFA FF015B0C
	v_mul_f32_e32 v204, v21, v204                              // 000000009034: 0B999915
	v_mul_f32_e32 v205, v21, v205                              // 000000009038: 0B9B9B15
	v_mul_f32_e32 v206, v21, v206                              // 00000000903C: 0B9D9D15
	v_mul_f32_e32 v207, v21, v207                              // 000000009040: 0B9F9F15
	v_cvt_f32_i32_e32 v208, v208                               // 000000009044: 7FA00BD0
	v_cvt_f32_i32_e32 v209, v209                               // 000000009048: 7FA20BD1
	v_cvt_f32_i32_e32 v210, v210                               // 00000000904C: 7FA40BD2
	v_cvt_f32_i32_e32 v211, v211                               // 000000009050: 7FA60BD3
	v_mul_f32_e32 v208, v24, v208                              // 000000009054: 0BA1A118
	v_mul_f32_e32 v209, v24, v209                              // 000000009058: 0BA3A318
	v_mul_f32_e32 v210, v24, v210                              // 00000000905C: 0BA5A518
	v_mul_f32_e32 v211, v24, v211                              // 000000009060: 0BA7A718
	v_mul_f32_dpp v208, v12, v208 row_newbcast:12 row_mask:0xf bank_mask:0xf// 000000009064: 0BA1A0FA FF015C0C
	v_mul_f32_dpp v209, v12, v209 row_newbcast:13 row_mask:0xf bank_mask:0xf// 00000000906C: 0BA3A2FA FF015D0C
	v_mul_f32_dpp v210, v12, v210 row_newbcast:14 row_mask:0xf bank_mask:0xf// 000000009074: 0BA5A4FA FF015E0C
	v_mul_f32_dpp v211, v12, v211 row_newbcast:15 row_mask:0xf bank_mask:0xf// 00000000907C: 0BA7A6FA FF015F0C
	v_mul_f32_e32 v208, v20, v208                              // 000000009084: 0BA1A114
	v_mul_f32_e32 v209, v20, v209                              // 000000009088: 0BA3A314
	v_mul_f32_e32 v210, v20, v210                              // 00000000908C: 0BA5A514
	v_mul_f32_e32 v211, v20, v211                              // 000000009090: 0BA7A714
	v_cvt_f32_i32_e32 v212, v212                               // 000000009094: 7FA80BD4
	v_cvt_f32_i32_e32 v213, v213                               // 000000009098: 7FAA0BD5
	v_cvt_f32_i32_e32 v214, v214                               // 00000000909C: 7FAC0BD6
	v_cvt_f32_i32_e32 v215, v215                               // 0000000090A0: 7FAE0BD7
	v_mul_f32_e32 v212, v25, v212                              // 0000000090A4: 0BA9A919
	v_mul_f32_e32 v213, v25, v213                              // 0000000090A8: 0BABAB19
	v_mul_f32_e32 v214, v25, v214                              // 0000000090AC: 0BADAD19
	v_mul_f32_e32 v215, v25, v215                              // 0000000090B0: 0BAFAF19
	v_mul_f32_dpp v212, v12, v212 row_newbcast:12 row_mask:0xf bank_mask:0xf// 0000000090B4: 0BA9A8FA FF015C0C
	v_mul_f32_dpp v213, v12, v213 row_newbcast:13 row_mask:0xf bank_mask:0xf// 0000000090BC: 0BABAAFA FF015D0C
	v_mul_f32_dpp v214, v12, v214 row_newbcast:14 row_mask:0xf bank_mask:0xf// 0000000090C4: 0BADACFA FF015E0C
	v_mul_f32_dpp v215, v12, v215 row_newbcast:15 row_mask:0xf bank_mask:0xf// 0000000090CC: 0BAFAEFA FF015F0C
	v_mul_f32_e32 v212, v21, v212                              // 0000000090D4: 0BA9A915
	v_mul_f32_e32 v213, v21, v213                              // 0000000090D8: 0BABAB15
	v_mul_f32_e32 v214, v21, v214                              // 0000000090DC: 0BADAD15
	v_mul_f32_e32 v215, v21, v215                              // 0000000090E0: 0BAFAF15
	v_cvt_pkrtz_f16_f32 v184, v184, v185                       // 0000000090E4: D29600B8 000373B8
	v_cvt_pkrtz_f16_f32 v185, v186, v187                       // 0000000090EC: D29600B9 000377BA
	v_cvt_pkrtz_f16_f32 v186, v188, v189                       // 0000000090F4: D29600BA 00037BBC
	v_cvt_pkrtz_f16_f32 v187, v190, v191                       // 0000000090FC: D29600BB 00037FBE
	v_cvt_pkrtz_f16_f32 v188, v192, v193                       // 000000009104: D29600BC 000383C0
	v_cvt_pkrtz_f16_f32 v189, v194, v195                       // 00000000910C: D29600BD 000387C2
	v_cvt_pkrtz_f16_f32 v190, v196, v197                       // 000000009114: D29600BE 00038BC4
	v_cvt_pkrtz_f16_f32 v191, v198, v199                       // 00000000911C: D29600BF 00038FC6
	v_cvt_pkrtz_f16_f32 v192, v200, v201                       // 000000009124: D29600C0 000393C8
	v_cvt_pkrtz_f16_f32 v193, v202, v203                       // 00000000912C: D29600C1 000397CA
	v_cvt_pkrtz_f16_f32 v194, v204, v205                       // 000000009134: D29600C2 00039BCC
	v_cvt_pkrtz_f16_f32 v195, v206, v207                       // 00000000913C: D29600C3 00039FCE
	v_cvt_pkrtz_f16_f32 v196, v208, v209                       // 000000009144: D29600C4 0003A3D0
	v_cvt_pkrtz_f16_f32 v197, v210, v211                       // 00000000914C: D29600C5 0003A7D2
	v_cvt_pkrtz_f16_f32 v198, v212, v213                       // 000000009154: D29600C6 0003ABD4
	v_cvt_pkrtz_f16_f32 v199, v214, v215                       // 00000000915C: D29600C7 0003AFD6
	ds_write_b64 v3, v[184:185] offset:33024                   // 000000009164: D89A8100 0000B803
	ds_write_b64 v3, v[186:187] offset:41728                   // 00000000916C: D89AA300 0000BA03
	ds_write_b64 v3, v[188:189] offset:35200                   // 000000009174: D89A8980 0000BC03
	ds_write_b64 v3, v[190:191] offset:43904                   // 00000000917C: D89AAB80 0000BE03
	ds_write_b64 v3, v[192:193] offset:37376                   // 000000009184: D89A9200 0000C003
	ds_write_b64 v3, v[194:195] offset:46080                   // 00000000918C: D89AB400 0000C203
	ds_write_b64 v3, v[196:197] offset:39552                   // 000000009194: D89A9A80 0000C403
	ds_write_b64 v3, v[198:199] offset:48256                   // 00000000919C: D89ABC80 0000C603
	s_waitcnt lgkmcnt(0)                                       // 0000000091A4: BF8CC07F
	s_barrier                                                  // 0000000091A8: BF8A0000
	ds_read_b32 v64, v4 offset:33024                           // 0000000091AC: D86C8100 40000004
	ds_read_b32 v65, v4 offset:37376                           // 0000000091B4: D86C9200 41000004
	ds_read_b32 v66, v4 offset:33056                           // 0000000091BC: D86C8120 42000004
	ds_read_b32 v67, v4 offset:37408                           // 0000000091C4: D86C9220 43000004
	ds_read_b32 v68, v4 offset:33088                           // 0000000091CC: D86C8140 44000004
	ds_read_b32 v69, v4 offset:37440                           // 0000000091D4: D86C9240 45000004
	ds_read_b32 v70, v4 offset:33120                           // 0000000091DC: D86C8160 46000004
	ds_read_b32 v71, v4 offset:37472                           // 0000000091E4: D86C9260 47000004
	ds_read_b32 v72, v4 offset:41728                           // 0000000091EC: D86CA300 48000004
	ds_read_b32 v73, v4 offset:46080                           // 0000000091F4: D86CB400 49000004
	ds_read_b32 v74, v4 offset:41760                           // 0000000091FC: D86CA320 4A000004
	ds_read_b32 v75, v4 offset:46112                           // 000000009204: D86CB420 4B000004
	ds_read_b32 v76, v4 offset:41792                           // 00000000920C: D86CA340 4C000004
	ds_read_b32 v77, v4 offset:46144                           // 000000009214: D86CB440 4D000004
	ds_read_b32 v78, v4 offset:41824                           // 00000000921C: D86CA360 4E000004
	ds_read_b32 v79, v4 offset:46176                           // 000000009224: D86CB460 4F000004
	s_waitcnt lgkmcnt(0)                                       // 00000000922C: BF8CC07F
	s_mov_b64 exec, s[20:21]                                   // 000000009230: BEFE0114
	global_atomic_pk_add_f16 v80, v64, s[8:9]                  // 000000009234: DD388000 00084050
	s_mov_b64 exec, s[36:37]                                   // 00000000923C: BEFE0124
	s_mov_b64 exec, s[20:21]                                   // 000000009240: BEFE0114
	global_atomic_pk_add_f16 v80, v65, s[8:9] offset:256       // 000000009244: DD388100 00084150
	s_mov_b64 exec, s[36:37]                                   // 00000000924C: BEFE0124
	s_mov_b64 exec, s[22:23]                                   // 000000009250: BEFE0116
	global_atomic_pk_add_f16 v82, v66, s[8:9]                  // 000000009254: DD388000 00084252
	s_mov_b64 exec, s[36:37]                                   // 00000000925C: BEFE0124
	s_mov_b64 exec, s[22:23]                                   // 000000009260: BEFE0116
	global_atomic_pk_add_f16 v82, v67, s[8:9] offset:256       // 000000009264: DD388100 00084352
	s_mov_b64 exec, s[36:37]                                   // 00000000926C: BEFE0124
	s_mov_b64 exec, s[24:25]                                   // 000000009270: BEFE0118
	global_atomic_pk_add_f16 v84, v68, s[8:9]                  // 000000009274: DD388000 00084454
	s_mov_b64 exec, s[36:37]                                   // 00000000927C: BEFE0124
	s_mov_b64 exec, s[24:25]                                   // 000000009280: BEFE0118
	global_atomic_pk_add_f16 v84, v69, s[8:9] offset:256       // 000000009284: DD388100 00084554
	s_mov_b64 exec, s[36:37]                                   // 00000000928C: BEFE0124
	s_mov_b64 exec, s[26:27]                                   // 000000009290: BEFE011A
	global_atomic_pk_add_f16 v86, v70, s[8:9]                  // 000000009294: DD388000 00084656
	s_mov_b64 exec, s[36:37]                                   // 00000000929C: BEFE0124
	s_mov_b64 exec, s[26:27]                                   // 0000000092A0: BEFE011A
	global_atomic_pk_add_f16 v86, v71, s[8:9] offset:256       // 0000000092A4: DD388100 00084756
	s_mov_b64 exec, s[36:37]                                   // 0000000092AC: BEFE0124
	s_mov_b64 exec, s[28:29]                                   // 0000000092B0: BEFE011C
	global_atomic_pk_add_f16 v88, v72, s[8:9]                  // 0000000092B4: DD388000 00084858
	s_mov_b64 exec, s[36:37]                                   // 0000000092BC: BEFE0124
	s_mov_b64 exec, s[28:29]                                   // 0000000092C0: BEFE011C
	global_atomic_pk_add_f16 v88, v73, s[8:9] offset:256       // 0000000092C4: DD388100 00084958
	s_mov_b64 exec, s[36:37]                                   // 0000000092CC: BEFE0124
	s_mov_b64 exec, s[30:31]                                   // 0000000092D0: BEFE011E
	global_atomic_pk_add_f16 v90, v74, s[8:9]                  // 0000000092D4: DD388000 00084A5A
	s_mov_b64 exec, s[36:37]                                   // 0000000092DC: BEFE0124
	s_mov_b64 exec, s[30:31]                                   // 0000000092E0: BEFE011E
	global_atomic_pk_add_f16 v90, v75, s[8:9] offset:256       // 0000000092E4: DD388100 00084B5A
	s_mov_b64 exec, s[36:37]                                   // 0000000092EC: BEFE0124
	s_mov_b64 exec, s[32:33]                                   // 0000000092F0: BEFE0120
	global_atomic_pk_add_f16 v92, v76, s[8:9]                  // 0000000092F4: DD388000 00084C5C
	s_mov_b64 exec, s[36:37]                                   // 0000000092FC: BEFE0124
	s_mov_b64 exec, s[32:33]                                   // 000000009300: BEFE0120
	global_atomic_pk_add_f16 v92, v77, s[8:9] offset:256       // 000000009304: DD388100 00084D5C
	s_mov_b64 exec, s[36:37]                                   // 00000000930C: BEFE0124
	s_mov_b64 exec, s[34:35]                                   // 000000009310: BEFE0122
	global_atomic_pk_add_f16 v94, v78, s[8:9]                  // 000000009314: DD388000 00084E5E
	s_mov_b64 exec, s[36:37]                                   // 00000000931C: BEFE0124
	s_mov_b64 exec, s[34:35]                                   // 000000009320: BEFE0122
	global_atomic_pk_add_f16 v94, v79, s[8:9] offset:256       // 000000009324: DD388100 00084F5E
	s_mov_b64 exec, s[36:37]                                   // 00000000932C: BEFE0124
	s_add_u32 s8, s59, s8                                      // 000000009330: 8008083B
	s_addc_u32 s9, 0, s9                                       // 000000009334: 82090980
	s_addk_i32 s80, 0x100                                      // 000000009338: B7500100
	s_cmp_lt_i32 s80, s81                                      // 00000000933C: BF045150
	s_cbranch_scc0 label_0F29                                  // 000000009340: BF84F5D8
	s_waitcnt vmcnt(41)                                        // 000000009344: BF8C8F79
	s_barrier                                                  // 000000009348: BF8A0000
	v_mfma_i32_16x16x32_i8 v[216:219], a[112:113], v[128:129], 0// 00000000934C: D3D700D8 0A030170
	buffer_load_dwordx4 a[0:3], v41, s[12:15], 0 offen         // 000000009354: E05C1000 80830029
	v_mfma_i32_16x16x32_i8 v[216:219], a[114:115], v[130:131], v[216:219]// 00000000935C: D3D700D8 0F630572
	v_mfma_i32_16x16x32_i8 v[220:223], a[112:113], v[156:157], 0// 000000009364: D3D700DC 0A033970
	v_mfma_i32_16x16x32_i8 v[220:223], a[114:115], v[158:159], v[220:223]// 00000000936C: D3D700DC 0F733D72
	v_mfma_i32_16x16x32_i8 v[224:227], a[116:117], v[128:129], 0// 000000009374: D3D700E0 0A030174
	buffer_load_dwordx4 a[4:7], v42, s[12:15], 0 offen         // 00000000937C: E05C1000 8083042A
	v_mfma_i32_16x16x32_i8 v[224:227], a[118:119], v[130:131], v[224:227]// 000000009384: D3D700E0 0F830576
	v_mfma_i32_16x16x32_i8 v[228:231], a[116:117], v[156:157], 0// 00000000938C: D3D700E4 0A033974
	v_mfma_i32_16x16x32_i8 v[228:231], a[118:119], v[158:159], v[228:231]// 000000009394: D3D700E4 0F933D76
	v_mfma_i32_16x16x32_i8 v[232:235], a[120:121], v[128:129], 0// 00000000939C: D3D700E8 0A030178
	buffer_load_dwordx4 a[8:11], v43, s[12:15], 0 offen        // 0000000093A4: E05C1000 8083082B
	v_mfma_i32_16x16x32_i8 v[232:235], a[122:123], v[130:131], v[232:235]// 0000000093AC: D3D700E8 0FA3057A
	v_mfma_i32_16x16x32_i8 v[236:239], a[120:121], v[156:157], 0// 0000000093B4: D3D700EC 0A033978
	v_mfma_i32_16x16x32_i8 v[236:239], a[122:123], v[158:159], v[236:239]// 0000000093BC: D3D700EC 0FB33D7A
	v_mfma_i32_16x16x32_i8 v[240:243], a[124:125], v[128:129], 0// 0000000093C4: D3D700F0 0A03017C
	buffer_load_dwordx4 a[12:15], v44, s[12:15], 0 offen       // 0000000093CC: E05C1000 80830C2C
	s_add_u32 s12, s78, s12                                    // 0000000093D4: 800C0C4E
	s_addc_u32 s13, 0, s13                                     // 0000000093D8: 820D0D80
	v_mfma_i32_16x16x32_i8 v[240:243], a[126:127], v[130:131], v[240:243]// 0000000093DC: D3D700F0 0FC3057E
	v_mfma_i32_16x16x32_i8 v[244:247], a[124:125], v[156:157], 0// 0000000093E4: D3D700F4 0A03397C
	v_mfma_i32_16x16x32_i8 v[244:247], a[126:127], v[158:159], v[244:247]// 0000000093EC: D3D700F4 0FD33D7E
	s_waitcnt vmcnt(41)                                        // 0000000093F4: BF8C8F79
	v_mfma_i32_16x16x32_i8 v[216:219], a[128:129], v[132:133], v[216:219]// 0000000093F8: D3D700D8 0F630980
	buffer_load_dwordx4 a[16:19], v41, s[12:15], 0 offen       // 000000009400: E05C1000 80831029
	v_mfma_i32_16x16x32_i8 v[216:219], a[130:131], v[134:135], v[216:219]// 000000009408: D3D700D8 0F630D82
	v_mfma_i32_16x16x32_i8 v[220:223], a[128:129], v[160:161], v[220:223]// 000000009410: D3D700DC 0F734180
	v_mfma_i32_16x16x32_i8 v[220:223], a[130:131], v[162:163], v[220:223]// 000000009418: D3D700DC 0F734582
	v_mfma_i32_16x16x32_i8 v[224:227], a[132:133], v[132:133], v[224:227]// 000000009420: D3D700E0 0F830984
	buffer_load_dwordx4 a[20:23], v42, s[12:15], 0 offen       // 000000009428: E05C1000 8083142A
	v_mfma_i32_16x16x32_i8 v[224:227], a[134:135], v[134:135], v[224:227]// 000000009430: D3D700E0 0F830D86
	v_mfma_i32_16x16x32_i8 v[228:231], a[132:133], v[160:161], v[228:231]// 000000009438: D3D700E4 0F934184
	v_mfma_i32_16x16x32_i8 v[228:231], a[134:135], v[162:163], v[228:231]// 000000009440: D3D700E4 0F934586
	v_mfma_i32_16x16x32_i8 v[232:235], a[136:137], v[132:133], v[232:235]// 000000009448: D3D700E8 0FA30988
	buffer_load_dwordx4 a[24:27], v43, s[12:15], 0 offen       // 000000009450: E05C1000 8083182B
	v_mfma_i32_16x16x32_i8 v[232:235], a[138:139], v[134:135], v[232:235]// 000000009458: D3D700E8 0FA30D8A
	v_mfma_i32_16x16x32_i8 v[236:239], a[136:137], v[160:161], v[236:239]// 000000009460: D3D700EC 0FB34188
	v_mfma_i32_16x16x32_i8 v[236:239], a[138:139], v[162:163], v[236:239]// 000000009468: D3D700EC 0FB3458A
	v_mfma_i32_16x16x32_i8 v[240:243], a[140:141], v[132:133], v[240:243]// 000000009470: D3D700F0 0FC3098C
	buffer_load_dwordx4 a[28:31], v44, s[12:15], 0 offen       // 000000009478: E05C1000 80831C2C
	s_add_u32 s12, s78, s12                                    // 000000009480: 800C0C4E
	s_addc_u32 s13, 0, s13                                     // 000000009484: 820D0D80
	v_mfma_i32_16x16x32_i8 v[240:243], a[142:143], v[134:135], v[240:243]// 000000009488: D3D700F0 0FC30D8E
	v_mfma_i32_16x16x32_i8 v[244:247], a[140:141], v[160:161], v[244:247]// 000000009490: D3D700F4 0FD3418C
	v_mfma_i32_16x16x32_i8 v[244:247], a[142:143], v[162:163], v[244:247]// 000000009498: D3D700F4 0FD3458E
	s_waitcnt vmcnt(41)                                        // 0000000094A0: BF8C8F79
	v_mfma_i32_16x16x32_i8 v[216:219], a[144:145], v[136:137], v[216:219]// 0000000094A4: D3D700D8 0F631190
	buffer_load_dwordx4 a[32:35], v41, s[12:15], 0 offen       // 0000000094AC: E05C1000 80832029
	v_mfma_i32_16x16x32_i8 v[216:219], a[146:147], v[138:139], v[216:219]// 0000000094B4: D3D700D8 0F631592
	v_mfma_i32_16x16x32_i8 v[220:223], a[144:145], v[164:165], v[220:223]// 0000000094BC: D3D700DC 0F734990
	v_mfma_i32_16x16x32_i8 v[220:223], a[146:147], v[166:167], v[220:223]// 0000000094C4: D3D700DC 0F734D92
	v_mfma_i32_16x16x32_i8 v[224:227], a[148:149], v[136:137], v[224:227]// 0000000094CC: D3D700E0 0F831194
	buffer_load_dwordx4 a[36:39], v42, s[12:15], 0 offen       // 0000000094D4: E05C1000 8083242A
	v_mfma_i32_16x16x32_i8 v[224:227], a[150:151], v[138:139], v[224:227]// 0000000094DC: D3D700E0 0F831596
	v_mfma_i32_16x16x32_i8 v[228:231], a[148:149], v[164:165], v[228:231]// 0000000094E4: D3D700E4 0F934994
	v_mfma_i32_16x16x32_i8 v[228:231], a[150:151], v[166:167], v[228:231]// 0000000094EC: D3D700E4 0F934D96
	v_mfma_i32_16x16x32_i8 v[232:235], a[152:153], v[136:137], v[232:235]// 0000000094F4: D3D700E8 0FA31198
	buffer_load_dwordx4 a[40:43], v43, s[12:15], 0 offen       // 0000000094FC: E05C1000 8083282B
	v_mfma_i32_16x16x32_i8 v[232:235], a[154:155], v[138:139], v[232:235]// 000000009504: D3D700E8 0FA3159A
	v_mfma_i32_16x16x32_i8 v[236:239], a[152:153], v[164:165], v[236:239]// 00000000950C: D3D700EC 0FB34998
	v_mfma_i32_16x16x32_i8 v[236:239], a[154:155], v[166:167], v[236:239]// 000000009514: D3D700EC 0FB34D9A
	v_mfma_i32_16x16x32_i8 v[240:243], a[156:157], v[136:137], v[240:243]// 00000000951C: D3D700F0 0FC3119C
	buffer_load_dwordx4 a[44:47], v44, s[12:15], 0 offen       // 000000009524: E05C1000 80832C2C
	s_add_u32 s12, s78, s12                                    // 00000000952C: 800C0C4E
	s_addc_u32 s13, 0, s13                                     // 000000009530: 820D0D80
	v_mfma_i32_16x16x32_i8 v[240:243], a[158:159], v[138:139], v[240:243]// 000000009534: D3D700F0 0FC3159E
	v_mfma_i32_16x16x32_i8 v[244:247], a[156:157], v[164:165], v[244:247]// 00000000953C: D3D700F4 0FD3499C
	v_mfma_i32_16x16x32_i8 v[244:247], a[158:159], v[166:167], v[244:247]// 000000009544: D3D700F4 0FD34D9E
	s_waitcnt vmcnt(41)                                        // 00000000954C: BF8C8F79
	v_mfma_i32_16x16x32_i8 v[216:219], a[160:161], v[140:141], v[216:219]// 000000009550: D3D700D8 0F6319A0
	buffer_load_dwordx4 a[48:51], v41, s[12:15], 0 offen       // 000000009558: E05C1000 80833029
	v_mfma_i32_16x16x32_i8 v[216:219], a[162:163], v[142:143], v[216:219]// 000000009560: D3D700D8 0F631DA2
	v_mfma_i32_16x16x32_i8 v[220:223], a[160:161], v[168:169], v[220:223]// 000000009568: D3D700DC 0F7351A0
	v_mfma_i32_16x16x32_i8 v[220:223], a[162:163], v[170:171], v[220:223]// 000000009570: D3D700DC 0F7355A2
	v_mfma_i32_16x16x32_i8 v[224:227], a[164:165], v[140:141], v[224:227]// 000000009578: D3D700E0 0F8319A4
	buffer_load_dwordx4 a[52:55], v42, s[12:15], 0 offen       // 000000009580: E05C1000 8083342A
	v_mfma_i32_16x16x32_i8 v[224:227], a[166:167], v[142:143], v[224:227]// 000000009588: D3D700E0 0F831DA6
	v_mfma_i32_16x16x32_i8 v[228:231], a[164:165], v[168:169], v[228:231]// 000000009590: D3D700E4 0F9351A4
	v_mfma_i32_16x16x32_i8 v[228:231], a[166:167], v[170:171], v[228:231]// 000000009598: D3D700E4 0F9355A6
	v_mfma_i32_16x16x32_i8 v[232:235], a[168:169], v[140:141], v[232:235]// 0000000095A0: D3D700E8 0FA319A8
	buffer_load_dwordx4 a[56:59], v43, s[12:15], 0 offen       // 0000000095A8: E05C1000 8083382B
	v_mfma_i32_16x16x32_i8 v[232:235], a[170:171], v[142:143], v[232:235]// 0000000095B0: D3D700E8 0FA31DAA
	v_mfma_i32_16x16x32_i8 v[236:239], a[168:169], v[168:169], v[236:239]// 0000000095B8: D3D700EC 0FB351A8
	v_mfma_i32_16x16x32_i8 v[236:239], a[170:171], v[170:171], v[236:239]// 0000000095C0: D3D700EC 0FB355AA
	v_mfma_i32_16x16x32_i8 v[240:243], a[172:173], v[140:141], v[240:243]// 0000000095C8: D3D700F0 0FC319AC
	buffer_load_dwordx4 a[60:63], v44, s[12:15], 0 offen       // 0000000095D0: E05C1000 80833C2C
	s_add_u32 s12, s78, s12                                    // 0000000095D8: 800C0C4E
	s_addc_u32 s13, 0, s13                                     // 0000000095DC: 820D0D80
	v_mfma_i32_16x16x32_i8 v[240:243], a[174:175], v[142:143], v[240:243]// 0000000095E0: D3D700F0 0FC31DAE
	v_mfma_i32_16x16x32_i8 v[244:247], a[172:173], v[168:169], v[244:247]// 0000000095E8: D3D700F4 0FD351AC
	v_mfma_i32_16x16x32_i8 v[244:247], a[174:175], v[170:171], v[244:247]// 0000000095F0: D3D700F4 0FD355AE
	s_waitcnt vmcnt(41)                                        // 0000000095F8: BF8C8F79
	v_mfma_i32_16x16x32_i8 v[216:219], a[176:177], v[144:145], v[216:219]// 0000000095FC: D3D700D8 0F6321B0
	buffer_load_dwordx4 a[64:67], v41, s[12:15], 0 offen       // 000000009604: E05C1000 80834029
	v_mfma_i32_16x16x32_i8 v[216:219], a[178:179], v[146:147], v[216:219]// 00000000960C: D3D700D8 0F6325B2
	v_mfma_i32_16x16x32_i8 v[220:223], a[176:177], v[172:173], v[220:223]// 000000009614: D3D700DC 0F7359B0
	v_mfma_i32_16x16x32_i8 v[220:223], a[178:179], v[174:175], v[220:223]// 00000000961C: D3D700DC 0F735DB2
	v_mfma_i32_16x16x32_i8 v[224:227], a[180:181], v[144:145], v[224:227]// 000000009624: D3D700E0 0F8321B4
	buffer_load_dwordx4 a[68:71], v42, s[12:15], 0 offen       // 00000000962C: E05C1000 8083442A
	v_mfma_i32_16x16x32_i8 v[224:227], a[182:183], v[146:147], v[224:227]// 000000009634: D3D700E0 0F8325B6
	v_mfma_i32_16x16x32_i8 v[228:231], a[180:181], v[172:173], v[228:231]// 00000000963C: D3D700E4 0F9359B4
	v_mfma_i32_16x16x32_i8 v[228:231], a[182:183], v[174:175], v[228:231]// 000000009644: D3D700E4 0F935DB6
	v_mfma_i32_16x16x32_i8 v[232:235], a[184:185], v[144:145], v[232:235]// 00000000964C: D3D700E8 0FA321B8
	buffer_load_dwordx4 a[72:75], v43, s[12:15], 0 offen       // 000000009654: E05C1000 8083482B
	v_mfma_i32_16x16x32_i8 v[232:235], a[186:187], v[146:147], v[232:235]// 00000000965C: D3D700E8 0FA325BA
	v_mfma_i32_16x16x32_i8 v[236:239], a[184:185], v[172:173], v[236:239]// 000000009664: D3D700EC 0FB359B8
	v_mfma_i32_16x16x32_i8 v[236:239], a[186:187], v[174:175], v[236:239]// 00000000966C: D3D700EC 0FB35DBA
	v_mfma_i32_16x16x32_i8 v[240:243], a[188:189], v[144:145], v[240:243]// 000000009674: D3D700F0 0FC321BC
	buffer_load_dwordx4 a[76:79], v44, s[12:15], 0 offen       // 00000000967C: E05C1000 80834C2C
	s_add_u32 s12, s78, s12                                    // 000000009684: 800C0C4E
	s_addc_u32 s13, 0, s13                                     // 000000009688: 820D0D80
	v_mfma_i32_16x16x32_i8 v[240:243], a[190:191], v[146:147], v[240:243]// 00000000968C: D3D700F0 0FC325BE
	v_mfma_i32_16x16x32_i8 v[244:247], a[188:189], v[172:173], v[244:247]// 000000009694: D3D700F4 0FD359BC
	v_mfma_i32_16x16x32_i8 v[244:247], a[190:191], v[174:175], v[244:247]// 00000000969C: D3D700F4 0FD35DBE
	s_waitcnt vmcnt(41)                                        // 0000000096A4: BF8C8F79
	v_mfma_i32_16x16x32_i8 v[216:219], a[192:193], v[148:149], v[216:219]// 0000000096A8: D3D700D8 0F6329C0
	buffer_load_dwordx4 a[80:83], v41, s[12:15], 0 offen       // 0000000096B0: E05C1000 80835029
	v_mfma_i32_16x16x32_i8 v[216:219], a[194:195], v[150:151], v[216:219]// 0000000096B8: D3D700D8 0F632DC2
	v_mfma_i32_16x16x32_i8 v[220:223], a[192:193], v[176:177], v[220:223]// 0000000096C0: D3D700DC 0F7361C0
	v_mfma_i32_16x16x32_i8 v[220:223], a[194:195], v[178:179], v[220:223]// 0000000096C8: D3D700DC 0F7365C2
	v_mfma_i32_16x16x32_i8 v[224:227], a[196:197], v[148:149], v[224:227]// 0000000096D0: D3D700E0 0F8329C4
	buffer_load_dwordx4 a[84:87], v42, s[12:15], 0 offen       // 0000000096D8: E05C1000 8083542A
	v_mfma_i32_16x16x32_i8 v[224:227], a[198:199], v[150:151], v[224:227]// 0000000096E0: D3D700E0 0F832DC6
	v_mfma_i32_16x16x32_i8 v[228:231], a[196:197], v[176:177], v[228:231]// 0000000096E8: D3D700E4 0F9361C4
	v_mfma_i32_16x16x32_i8 v[228:231], a[198:199], v[178:179], v[228:231]// 0000000096F0: D3D700E4 0F9365C6
	v_mfma_i32_16x16x32_i8 v[232:235], a[200:201], v[148:149], v[232:235]// 0000000096F8: D3D700E8 0FA329C8
	buffer_load_dwordx4 a[88:91], v43, s[12:15], 0 offen       // 000000009700: E05C1000 8083582B
	v_mfma_i32_16x16x32_i8 v[232:235], a[202:203], v[150:151], v[232:235]// 000000009708: D3D700E8 0FA32DCA
	v_mfma_i32_16x16x32_i8 v[236:239], a[200:201], v[176:177], v[236:239]// 000000009710: D3D700EC 0FB361C8
	v_mfma_i32_16x16x32_i8 v[236:239], a[202:203], v[178:179], v[236:239]// 000000009718: D3D700EC 0FB365CA
	v_mfma_i32_16x16x32_i8 v[240:243], a[204:205], v[148:149], v[240:243]// 000000009720: D3D700F0 0FC329CC
	buffer_load_dwordx4 a[92:95], v44, s[12:15], 0 offen       // 000000009728: E05C1000 80835C2C
	s_add_u32 s12, s78, s12                                    // 000000009730: 800C0C4E
	s_addc_u32 s13, 0, s13                                     // 000000009734: 820D0D80
	v_mfma_i32_16x16x32_i8 v[240:243], a[206:207], v[150:151], v[240:243]// 000000009738: D3D700F0 0FC32DCE
	v_mfma_i32_16x16x32_i8 v[244:247], a[204:205], v[176:177], v[244:247]// 000000009740: D3D700F4 0FD361CC
	v_mfma_i32_16x16x32_i8 v[244:247], a[206:207], v[178:179], v[244:247]// 000000009748: D3D700F4 0FD365CE
	s_waitcnt vmcnt(40)                                        // 000000009750: BF8C8F78
	v_mfma_i32_16x16x32_i8 v[216:219], a[208:209], v[152:153], v[216:219]// 000000009754: D3D700D8 0F6331D0
	buffer_load_dwordx4 a[96:99], v41, s[12:15], 0 offen       // 00000000975C: E05C1000 80836029
	v_mfma_i32_16x16x32_i8 v[216:219], a[210:211], v[154:155], v[216:219]// 000000009764: D3D700D8 0F6335D2
	v_mfma_i32_16x16x32_i8 v[220:223], a[208:209], v[180:181], v[220:223]// 00000000976C: D3D700DC 0F7369D0
	buffer_load_dword v12, v5, s[16:19], 0 offen               // 000000009774: E0501000 80040C05
	v_mfma_i32_16x16x32_i8 v[220:223], a[210:211], v[182:183], v[220:223]// 00000000977C: D3D700DC 0F736DD2
	v_mfma_i32_16x16x32_i8 v[224:227], a[212:213], v[152:153], v[224:227]// 000000009784: D3D700E0 0F8331D4
	buffer_load_dwordx4 a[100:103], v42, s[12:15], 0 offen     // 00000000978C: E05C1000 8083642A
	v_mfma_i32_16x16x32_i8 v[224:227], a[214:215], v[154:155], v[224:227]// 000000009794: D3D700E0 0F8335D6
	v_mfma_i32_16x16x32_i8 v[228:231], a[212:213], v[180:181], v[228:231]// 00000000979C: D3D700E4 0F9369D4
	v_mfma_i32_16x16x32_i8 v[228:231], a[214:215], v[182:183], v[228:231]// 0000000097A4: D3D700E4 0F936DD6
	v_mfma_i32_16x16x32_i8 v[232:235], a[216:217], v[152:153], v[232:235]// 0000000097AC: D3D700E8 0FA331D8
	buffer_load_dwordx4 a[104:107], v43, s[12:15], 0 offen     // 0000000097B4: E05C1000 8083682B
	v_mfma_i32_16x16x32_i8 v[232:235], a[218:219], v[154:155], v[232:235]// 0000000097BC: D3D700E8 0FA335DA
	v_mfma_i32_16x16x32_i8 v[236:239], a[216:217], v[180:181], v[236:239]// 0000000097C4: D3D700EC 0FB369D8
	v_mfma_i32_16x16x32_i8 v[236:239], a[218:219], v[182:183], v[236:239]// 0000000097CC: D3D700EC 0FB36DDA
	v_mfma_i32_16x16x32_i8 v[240:243], a[220:221], v[152:153], v[240:243]// 0000000097D4: D3D700F0 0FC331DC
	buffer_load_dwordx4 a[108:111], v44, s[12:15], 0 offen     // 0000000097DC: E05C1000 80836C2C
	v_mfma_i32_16x16x32_i8 v[240:243], a[222:223], v[154:155], v[240:243]// 0000000097E4: D3D700F0 0FC335DE
	v_mfma_i32_16x16x32_i8 v[244:247], a[220:221], v[180:181], v[244:247]// 0000000097EC: D3D700F4 0FD369DC
	v_mfma_i32_16x16x32_i8 v[244:247], a[222:223], v[182:183], v[244:247]// 0000000097F4: D3D700F4 0FD36DDE
	s_add_u32 s60, 0x200, s80                                  // 0000000097FC: 803C50FF 00000200
	s_cmp_lt_u32 s60, s81                                      // 000000009804: BF0A513C
	s_cselect_b32 s56, s56, 0                                  // 000000009808: 85388038
	s_cselect_b32 s78, s78, 0                                  // 00000000980C: 854E804E
	s_cselect_b32 s79, s79, 0                                  // 000000009810: 854F804F
	s_add_u32 s12, s56, s12                                    // 000000009814: 800C0C38
	s_addc_u32 s13, 0, s13                                     // 000000009818: 820D0D80
	s_add_u32 s16, s79, s16                                    // 00000000981C: 8010104F
	s_addc_u32 s17, 0, s17                                     // 000000009820: 82111180
	v_cvt_f32_i32_e32 v216, v216                               // 000000009824: 7FB00BD8
	v_cvt_f32_i32_e32 v217, v217                               // 000000009828: 7FB20BD9
	v_cvt_f32_i32_e32 v218, v218                               // 00000000982C: 7FB40BDA
	v_cvt_f32_i32_e32 v219, v219                               // 000000009830: 7FB60BDB
	v_mul_f32_e32 v216, v24, v216                              // 000000009834: 0BB1B118
	v_mul_f32_e32 v217, v24, v217                              // 000000009838: 0BB3B318
	v_mul_f32_e32 v218, v24, v218                              // 00000000983C: 0BB5B518
	v_mul_f32_e32 v219, v24, v219                              // 000000009840: 0BB7B718
	v_mul_f32_dpp v216, v13, v216 row_newbcast:0 row_mask:0xf bank_mask:0xf// 000000009844: 0BB1B0FA FF01500D
	v_mul_f32_dpp v217, v13, v217 row_newbcast:1 row_mask:0xf bank_mask:0xf// 00000000984C: 0BB3B2FA FF01510D
	v_mul_f32_dpp v218, v13, v218 row_newbcast:2 row_mask:0xf bank_mask:0xf// 000000009854: 0BB5B4FA FF01520D
	v_mul_f32_dpp v219, v13, v219 row_newbcast:3 row_mask:0xf bank_mask:0xf// 00000000985C: 0BB7B6FA FF01530D
	v_mul_f32_e32 v216, v20, v216                              // 000000009864: 0BB1B114
	v_mul_f32_e32 v217, v20, v217                              // 000000009868: 0BB3B314
	v_mul_f32_e32 v218, v20, v218                              // 00000000986C: 0BB5B514
	v_mul_f32_e32 v219, v20, v219                              // 000000009870: 0BB7B714
	v_cvt_f32_i32_e32 v220, v220                               // 000000009874: 7FB80BDC
	v_cvt_f32_i32_e32 v221, v221                               // 000000009878: 7FBA0BDD
	v_cvt_f32_i32_e32 v222, v222                               // 00000000987C: 7FBC0BDE
	v_cvt_f32_i32_e32 v223, v223                               // 000000009880: 7FBE0BDF
	v_mul_f32_e32 v220, v25, v220                              // 000000009884: 0BB9B919
	v_mul_f32_e32 v221, v25, v221                              // 000000009888: 0BBBBB19
	v_mul_f32_e32 v222, v25, v222                              // 00000000988C: 0BBDBD19
	v_mul_f32_e32 v223, v25, v223                              // 000000009890: 0BBFBF19
	v_mul_f32_dpp v220, v13, v220 row_newbcast:0 row_mask:0xf bank_mask:0xf// 000000009894: 0BB9B8FA FF01500D
	v_mul_f32_dpp v221, v13, v221 row_newbcast:1 row_mask:0xf bank_mask:0xf// 00000000989C: 0BBBBAFA FF01510D
	v_mul_f32_dpp v222, v13, v222 row_newbcast:2 row_mask:0xf bank_mask:0xf// 0000000098A4: 0BBDBCFA FF01520D
	v_mul_f32_dpp v223, v13, v223 row_newbcast:3 row_mask:0xf bank_mask:0xf// 0000000098AC: 0BBFBEFA FF01530D
	v_mul_f32_e32 v220, v21, v220                              // 0000000098B4: 0BB9B915
	v_mul_f32_e32 v221, v21, v221                              // 0000000098B8: 0BBBBB15
	v_mul_f32_e32 v222, v21, v222                              // 0000000098BC: 0BBDBD15
	v_mul_f32_e32 v223, v21, v223                              // 0000000098C0: 0BBFBF15
	v_cvt_f32_i32_e32 v224, v224                               // 0000000098C4: 7FC00BE0
	v_cvt_f32_i32_e32 v225, v225                               // 0000000098C8: 7FC20BE1
	v_cvt_f32_i32_e32 v226, v226                               // 0000000098CC: 7FC40BE2
	v_cvt_f32_i32_e32 v227, v227                               // 0000000098D0: 7FC60BE3
	v_mul_f32_e32 v224, v24, v224                              // 0000000098D4: 0BC1C118
	v_mul_f32_e32 v225, v24, v225                              // 0000000098D8: 0BC3C318
	v_mul_f32_e32 v226, v24, v226                              // 0000000098DC: 0BC5C518
	v_mul_f32_e32 v227, v24, v227                              // 0000000098E0: 0BC7C718
	v_mul_f32_dpp v224, v13, v224 row_newbcast:4 row_mask:0xf bank_mask:0xf// 0000000098E4: 0BC1C0FA FF01540D
	v_mul_f32_dpp v225, v13, v225 row_newbcast:5 row_mask:0xf bank_mask:0xf// 0000000098EC: 0BC3C2FA FF01550D
	v_mul_f32_dpp v226, v13, v226 row_newbcast:6 row_mask:0xf bank_mask:0xf// 0000000098F4: 0BC5C4FA FF01560D
	v_mul_f32_dpp v227, v13, v227 row_newbcast:7 row_mask:0xf bank_mask:0xf// 0000000098FC: 0BC7C6FA FF01570D
	v_mul_f32_e32 v224, v20, v224                              // 000000009904: 0BC1C114
	v_mul_f32_e32 v225, v20, v225                              // 000000009908: 0BC3C314
	v_mul_f32_e32 v226, v20, v226                              // 00000000990C: 0BC5C514
	v_mul_f32_e32 v227, v20, v227                              // 000000009910: 0BC7C714
	v_cvt_f32_i32_e32 v228, v228                               // 000000009914: 7FC80BE4
	v_cvt_f32_i32_e32 v229, v229                               // 000000009918: 7FCA0BE5
	v_cvt_f32_i32_e32 v230, v230                               // 00000000991C: 7FCC0BE6
	v_cvt_f32_i32_e32 v231, v231                               // 000000009920: 7FCE0BE7
	v_mul_f32_e32 v228, v25, v228                              // 000000009924: 0BC9C919
	v_mul_f32_e32 v229, v25, v229                              // 000000009928: 0BCBCB19
	v_mul_f32_e32 v230, v25, v230                              // 00000000992C: 0BCDCD19
	v_mul_f32_e32 v231, v25, v231                              // 000000009930: 0BCFCF19
	v_mul_f32_dpp v228, v13, v228 row_newbcast:4 row_mask:0xf bank_mask:0xf// 000000009934: 0BC9C8FA FF01540D
	v_mul_f32_dpp v229, v13, v229 row_newbcast:5 row_mask:0xf bank_mask:0xf// 00000000993C: 0BCBCAFA FF01550D
	v_mul_f32_dpp v230, v13, v230 row_newbcast:6 row_mask:0xf bank_mask:0xf// 000000009944: 0BCDCCFA FF01560D
	v_mul_f32_dpp v231, v13, v231 row_newbcast:7 row_mask:0xf bank_mask:0xf// 00000000994C: 0BCFCEFA FF01570D
	v_mul_f32_e32 v228, v21, v228                              // 000000009954: 0BC9C915
	v_mul_f32_e32 v229, v21, v229                              // 000000009958: 0BCBCB15
	v_mul_f32_e32 v230, v21, v230                              // 00000000995C: 0BCDCD15
	v_mul_f32_e32 v231, v21, v231                              // 000000009960: 0BCFCF15
	v_cvt_f32_i32_e32 v232, v232                               // 000000009964: 7FD00BE8
	v_cvt_f32_i32_e32 v233, v233                               // 000000009968: 7FD20BE9
	v_cvt_f32_i32_e32 v234, v234                               // 00000000996C: 7FD40BEA
	v_cvt_f32_i32_e32 v235, v235                               // 000000009970: 7FD60BEB
	v_mul_f32_e32 v232, v24, v232                              // 000000009974: 0BD1D118
	v_mul_f32_e32 v233, v24, v233                              // 000000009978: 0BD3D318
	v_mul_f32_e32 v234, v24, v234                              // 00000000997C: 0BD5D518
	v_mul_f32_e32 v235, v24, v235                              // 000000009980: 0BD7D718
	v_mul_f32_dpp v232, v13, v232 row_newbcast:8 row_mask:0xf bank_mask:0xf// 000000009984: 0BD1D0FA FF01580D
	v_mul_f32_dpp v233, v13, v233 row_newbcast:9 row_mask:0xf bank_mask:0xf// 00000000998C: 0BD3D2FA FF01590D
	v_mul_f32_dpp v234, v13, v234 row_newbcast:10 row_mask:0xf bank_mask:0xf// 000000009994: 0BD5D4FA FF015A0D
	v_mul_f32_dpp v235, v13, v235 row_newbcast:11 row_mask:0xf bank_mask:0xf// 00000000999C: 0BD7D6FA FF015B0D
	v_mul_f32_e32 v232, v20, v232                              // 0000000099A4: 0BD1D114
	v_mul_f32_e32 v233, v20, v233                              // 0000000099A8: 0BD3D314
	v_mul_f32_e32 v234, v20, v234                              // 0000000099AC: 0BD5D514
	v_mul_f32_e32 v235, v20, v235                              // 0000000099B0: 0BD7D714
	v_cvt_f32_i32_e32 v236, v236                               // 0000000099B4: 7FD80BEC
	v_cvt_f32_i32_e32 v237, v237                               // 0000000099B8: 7FDA0BED
	v_cvt_f32_i32_e32 v238, v238                               // 0000000099BC: 7FDC0BEE
	v_cvt_f32_i32_e32 v239, v239                               // 0000000099C0: 7FDE0BEF
	v_mul_f32_e32 v236, v25, v236                              // 0000000099C4: 0BD9D919
	v_mul_f32_e32 v237, v25, v237                              // 0000000099C8: 0BDBDB19
	v_mul_f32_e32 v238, v25, v238                              // 0000000099CC: 0BDDDD19
	v_mul_f32_e32 v239, v25, v239                              // 0000000099D0: 0BDFDF19
	v_mul_f32_dpp v236, v13, v236 row_newbcast:8 row_mask:0xf bank_mask:0xf// 0000000099D4: 0BD9D8FA FF01580D
	v_mul_f32_dpp v237, v13, v237 row_newbcast:9 row_mask:0xf bank_mask:0xf// 0000000099DC: 0BDBDAFA FF01590D
	v_mul_f32_dpp v238, v13, v238 row_newbcast:10 row_mask:0xf bank_mask:0xf// 0000000099E4: 0BDDDCFA FF015A0D
	v_mul_f32_dpp v239, v13, v239 row_newbcast:11 row_mask:0xf bank_mask:0xf// 0000000099EC: 0BDFDEFA FF015B0D
	v_mul_f32_e32 v236, v21, v236                              // 0000000099F4: 0BD9D915
	v_mul_f32_e32 v237, v21, v237                              // 0000000099F8: 0BDBDB15
	v_mul_f32_e32 v238, v21, v238                              // 0000000099FC: 0BDDDD15
	v_mul_f32_e32 v239, v21, v239                              // 000000009A00: 0BDFDF15
	v_cvt_f32_i32_e32 v240, v240                               // 000000009A04: 7FE00BF0
	v_cvt_f32_i32_e32 v241, v241                               // 000000009A08: 7FE20BF1
	v_cvt_f32_i32_e32 v242, v242                               // 000000009A0C: 7FE40BF2
	v_cvt_f32_i32_e32 v243, v243                               // 000000009A10: 7FE60BF3
	v_mul_f32_e32 v240, v24, v240                              // 000000009A14: 0BE1E118
	v_mul_f32_e32 v241, v24, v241                              // 000000009A18: 0BE3E318
	v_mul_f32_e32 v242, v24, v242                              // 000000009A1C: 0BE5E518
	v_mul_f32_e32 v243, v24, v243                              // 000000009A20: 0BE7E718
	v_mul_f32_dpp v240, v13, v240 row_newbcast:12 row_mask:0xf bank_mask:0xf// 000000009A24: 0BE1E0FA FF015C0D
	v_mul_f32_dpp v241, v13, v241 row_newbcast:13 row_mask:0xf bank_mask:0xf// 000000009A2C: 0BE3E2FA FF015D0D
	v_mul_f32_dpp v242, v13, v242 row_newbcast:14 row_mask:0xf bank_mask:0xf// 000000009A34: 0BE5E4FA FF015E0D
	v_mul_f32_dpp v243, v13, v243 row_newbcast:15 row_mask:0xf bank_mask:0xf// 000000009A3C: 0BE7E6FA FF015F0D
	v_mul_f32_e32 v240, v20, v240                              // 000000009A44: 0BE1E114
	v_mul_f32_e32 v241, v20, v241                              // 000000009A48: 0BE3E314
	v_mul_f32_e32 v242, v20, v242                              // 000000009A4C: 0BE5E514
	v_mul_f32_e32 v243, v20, v243                              // 000000009A50: 0BE7E714
	v_cvt_f32_i32_e32 v244, v244                               // 000000009A54: 7FE80BF4
	v_cvt_f32_i32_e32 v245, v245                               // 000000009A58: 7FEA0BF5
	v_cvt_f32_i32_e32 v246, v246                               // 000000009A5C: 7FEC0BF6
	v_cvt_f32_i32_e32 v247, v247                               // 000000009A60: 7FEE0BF7
	v_mul_f32_e32 v244, v25, v244                              // 000000009A64: 0BE9E919
	v_mul_f32_e32 v245, v25, v245                              // 000000009A68: 0BEBEB19
	v_mul_f32_e32 v246, v25, v246                              // 000000009A6C: 0BEDED19
	v_mul_f32_e32 v247, v25, v247                              // 000000009A70: 0BEFEF19
	v_mul_f32_dpp v244, v13, v244 row_newbcast:12 row_mask:0xf bank_mask:0xf// 000000009A74: 0BE9E8FA FF015C0D
	v_mul_f32_dpp v245, v13, v245 row_newbcast:13 row_mask:0xf bank_mask:0xf// 000000009A7C: 0BEBEAFA FF015D0D
	v_mul_f32_dpp v246, v13, v246 row_newbcast:14 row_mask:0xf bank_mask:0xf// 000000009A84: 0BEDECFA FF015E0D
	v_mul_f32_dpp v247, v13, v247 row_newbcast:15 row_mask:0xf bank_mask:0xf// 000000009A8C: 0BEFEEFA FF015F0D
	v_mul_f32_e32 v244, v21, v244                              // 000000009A94: 0BE9E915
	v_mul_f32_e32 v245, v21, v245                              // 000000009A98: 0BEBEB15
	v_mul_f32_e32 v246, v21, v246                              // 000000009A9C: 0BEDED15
	v_mul_f32_e32 v247, v21, v247                              // 000000009AA0: 0BEFEF15
	v_cvt_pkrtz_f16_f32 v216, v216, v217                       // 000000009AA4: D29600D8 0003B3D8
	v_cvt_pkrtz_f16_f32 v217, v218, v219                       // 000000009AAC: D29600D9 0003B7DA
	v_cvt_pkrtz_f16_f32 v218, v220, v221                       // 000000009AB4: D29600DA 0003BBDC
	v_cvt_pkrtz_f16_f32 v219, v222, v223                       // 000000009ABC: D29600DB 0003BFDE
	v_cvt_pkrtz_f16_f32 v220, v224, v225                       // 000000009AC4: D29600DC 0003C3E0
	v_cvt_pkrtz_f16_f32 v221, v226, v227                       // 000000009ACC: D29600DD 0003C7E2
	v_cvt_pkrtz_f16_f32 v222, v228, v229                       // 000000009AD4: D29600DE 0003CBE4
	v_cvt_pkrtz_f16_f32 v223, v230, v231                       // 000000009ADC: D29600DF 0003CFE6
	v_cvt_pkrtz_f16_f32 v224, v232, v233                       // 000000009AE4: D29600E0 0003D3E8
	v_cvt_pkrtz_f16_f32 v225, v234, v235                       // 000000009AEC: D29600E1 0003D7EA
	v_cvt_pkrtz_f16_f32 v226, v236, v237                       // 000000009AF4: D29600E2 0003DBEC
	v_cvt_pkrtz_f16_f32 v227, v238, v239                       // 000000009AFC: D29600E3 0003DFEE
	v_cvt_pkrtz_f16_f32 v228, v240, v241                       // 000000009B04: D29600E4 0003E3F0
	v_cvt_pkrtz_f16_f32 v229, v242, v243                       // 000000009B0C: D29600E5 0003E7F2
	v_cvt_pkrtz_f16_f32 v230, v244, v245                       // 000000009B14: D29600E6 0003EBF4
	v_cvt_pkrtz_f16_f32 v231, v246, v247                       // 000000009B1C: D29600E7 0003EFF6
	ds_write_b64 v3, v[216:217] offset:33024                   // 000000009B24: D89A8100 0000D803
	ds_write_b64 v3, v[218:219] offset:41728                   // 000000009B2C: D89AA300 0000DA03
	ds_write_b64 v3, v[220:221] offset:35200                   // 000000009B34: D89A8980 0000DC03
	ds_write_b64 v3, v[222:223] offset:43904                   // 000000009B3C: D89AAB80 0000DE03
	ds_write_b64 v3, v[224:225] offset:37376                   // 000000009B44: D89A9200 0000E003
	ds_write_b64 v3, v[226:227] offset:46080                   // 000000009B4C: D89AB400 0000E203
	ds_write_b64 v3, v[228:229] offset:39552                   // 000000009B54: D89A9A80 0000E403
	ds_write_b64 v3, v[230:231] offset:48256                   // 000000009B5C: D89ABC80 0000E603
	s_waitcnt lgkmcnt(0)                                       // 000000009B64: BF8CC07F
	s_barrier                                                  // 000000009B68: BF8A0000
	ds_read_b32 v64, v4 offset:33024                           // 000000009B6C: D86C8100 40000004
	ds_read_b32 v65, v4 offset:37376                           // 000000009B74: D86C9200 41000004
	ds_read_b32 v66, v4 offset:33056                           // 000000009B7C: D86C8120 42000004
	ds_read_b32 v67, v4 offset:37408                           // 000000009B84: D86C9220 43000004
	ds_read_b32 v68, v4 offset:33088                           // 000000009B8C: D86C8140 44000004
	ds_read_b32 v69, v4 offset:37440                           // 000000009B94: D86C9240 45000004
	ds_read_b32 v70, v4 offset:33120                           // 000000009B9C: D86C8160 46000004
	ds_read_b32 v71, v4 offset:37472                           // 000000009BA4: D86C9260 47000004
	ds_read_b32 v72, v4 offset:41728                           // 000000009BAC: D86CA300 48000004
	ds_read_b32 v73, v4 offset:46080                           // 000000009BB4: D86CB400 49000004
	ds_read_b32 v74, v4 offset:41760                           // 000000009BBC: D86CA320 4A000004
	ds_read_b32 v75, v4 offset:46112                           // 000000009BC4: D86CB420 4B000004
	ds_read_b32 v76, v4 offset:41792                           // 000000009BCC: D86CA340 4C000004
	ds_read_b32 v77, v4 offset:46144                           // 000000009BD4: D86CB440 4D000004
	ds_read_b32 v78, v4 offset:41824                           // 000000009BDC: D86CA360 4E000004
	ds_read_b32 v79, v4 offset:46176                           // 000000009BE4: D86CB460 4F000004
	s_waitcnt lgkmcnt(0)                                       // 000000009BEC: BF8CC07F
	s_mov_b64 exec, s[20:21]                                   // 000000009BF0: BEFE0114
	global_atomic_pk_add_f16 v80, v64, s[8:9]                  // 000000009BF4: DD388000 00084050
	s_mov_b64 exec, s[36:37]                                   // 000000009BFC: BEFE0124
	s_mov_b64 exec, s[20:21]                                   // 000000009C00: BEFE0114
	global_atomic_pk_add_f16 v80, v65, s[8:9] offset:256       // 000000009C04: DD388100 00084150
	s_mov_b64 exec, s[36:37]                                   // 000000009C0C: BEFE0124
	s_mov_b64 exec, s[22:23]                                   // 000000009C10: BEFE0116
	global_atomic_pk_add_f16 v82, v66, s[8:9]                  // 000000009C14: DD388000 00084252
	s_mov_b64 exec, s[36:37]                                   // 000000009C1C: BEFE0124
	s_mov_b64 exec, s[22:23]                                   // 000000009C20: BEFE0116
	global_atomic_pk_add_f16 v82, v67, s[8:9] offset:256       // 000000009C24: DD388100 00084352
	s_mov_b64 exec, s[36:37]                                   // 000000009C2C: BEFE0124
	s_mov_b64 exec, s[24:25]                                   // 000000009C30: BEFE0118
	global_atomic_pk_add_f16 v84, v68, s[8:9]                  // 000000009C34: DD388000 00084454
	s_mov_b64 exec, s[36:37]                                   // 000000009C3C: BEFE0124
	s_mov_b64 exec, s[24:25]                                   // 000000009C40: BEFE0118
	global_atomic_pk_add_f16 v84, v69, s[8:9] offset:256       // 000000009C44: DD388100 00084554
	s_mov_b64 exec, s[36:37]                                   // 000000009C4C: BEFE0124
	s_mov_b64 exec, s[26:27]                                   // 000000009C50: BEFE011A
	global_atomic_pk_add_f16 v86, v70, s[8:9]                  // 000000009C54: DD388000 00084656
	s_mov_b64 exec, s[36:37]                                   // 000000009C5C: BEFE0124
	s_mov_b64 exec, s[26:27]                                   // 000000009C60: BEFE011A
	global_atomic_pk_add_f16 v86, v71, s[8:9] offset:256       // 000000009C64: DD388100 00084756
	s_mov_b64 exec, s[36:37]                                   // 000000009C6C: BEFE0124
	s_mov_b64 exec, s[28:29]                                   // 000000009C70: BEFE011C
	global_atomic_pk_add_f16 v88, v72, s[8:9]                  // 000000009C74: DD388000 00084858
	s_mov_b64 exec, s[36:37]                                   // 000000009C7C: BEFE0124
	s_mov_b64 exec, s[28:29]                                   // 000000009C80: BEFE011C
	global_atomic_pk_add_f16 v88, v73, s[8:9] offset:256       // 000000009C84: DD388100 00084958
	s_mov_b64 exec, s[36:37]                                   // 000000009C8C: BEFE0124
	s_mov_b64 exec, s[30:31]                                   // 000000009C90: BEFE011E
	global_atomic_pk_add_f16 v90, v74, s[8:9]                  // 000000009C94: DD388000 00084A5A
	s_mov_b64 exec, s[36:37]                                   // 000000009C9C: BEFE0124
	s_mov_b64 exec, s[30:31]                                   // 000000009CA0: BEFE011E
	global_atomic_pk_add_f16 v90, v75, s[8:9] offset:256       // 000000009CA4: DD388100 00084B5A
	s_mov_b64 exec, s[36:37]                                   // 000000009CAC: BEFE0124
	s_mov_b64 exec, s[32:33]                                   // 000000009CB0: BEFE0120
	global_atomic_pk_add_f16 v92, v76, s[8:9]                  // 000000009CB4: DD388000 00084C5C
	s_mov_b64 exec, s[36:37]                                   // 000000009CBC: BEFE0124
	s_mov_b64 exec, s[32:33]                                   // 000000009CC0: BEFE0120
	global_atomic_pk_add_f16 v92, v77, s[8:9] offset:256       // 000000009CC4: DD388100 00084D5C
	s_mov_b64 exec, s[36:37]                                   // 000000009CCC: BEFE0124
	s_mov_b64 exec, s[34:35]                                   // 000000009CD0: BEFE0122
	global_atomic_pk_add_f16 v94, v78, s[8:9]                  // 000000009CD4: DD388000 00084E5E
	s_mov_b64 exec, s[36:37]                                   // 000000009CDC: BEFE0124
	s_mov_b64 exec, s[34:35]                                   // 000000009CE0: BEFE0122
	global_atomic_pk_add_f16 v94, v79, s[8:9] offset:256       // 000000009CE4: DD388100 00084F5E
	s_mov_b64 exec, s[36:37]                                   // 000000009CEC: BEFE0124
	s_add_u32 s8, s59, s8                                      // 000000009CF0: 8008083B
	s_addc_u32 s9, 0, s9                                       // 000000009CF4: 82090980
	s_addk_i32 s80, 0x100                                      // 000000009CF8: B7500100
	s_cmp_lt_i32 s80, s81                                      // 000000009CFC: BF045150
	s_cbranch_scc0 label_0F29                                  // 000000009D00: BF84F368
	s_branch label_16E1                                        // 000000009D04: BF82FB1F

0000000000009d08 <label_1BC2>:
	s_waitcnt vmcnt(0) expcnt(0) lgkmcnt(0)                    // 000000009D08: BF8C0000
	s_endpgm                                                   // 000000009D0C: BF810000
